;; amdgpu-corpus repo=zjin-lcf/HeCBench kind=compiled arch=gfx1030 opt=O3
	.amdgcn_target "amdgcn-amd-amdhsa--gfx1030"
	.amdhsa_code_object_version 6
	.text
	.protected	_Z19selective_scan_basePKfS0_S0_S0_S0_S0_S0_S0_biiiiPfS1_ ; -- Begin function _Z19selective_scan_basePKfS0_S0_S0_S0_S0_S0_S0_biiiiPfS1_
	.globl	_Z19selective_scan_basePKfS0_S0_S0_S0_S0_S0_S0_biiiiPfS1_
	.p2align	8
	.type	_Z19selective_scan_basePKfS0_S0_S0_S0_S0_S0_S0_biiiiPfS1_,@function
_Z19selective_scan_basePKfS0_S0_S0_S0_S0_S0_S0_biiiiPfS1_: ; @_Z19selective_scan_basePKfS0_S0_S0_S0_S0_S0_S0_biiiiPfS1_
; %bb.0:
	s_clause 0x1
	s_load_dword s8, s[4:5], 0x74
	s_load_dwordx4 s[0:3], s[4:5], 0x40
	s_waitcnt lgkmcnt(0)
	s_and_b32 s8, s8, 0xffff
	s_cmp_lt_i32 s6, s1
	v_mad_u64_u32 v[8:9], null, s7, s8, v[0:1]
	s_cselect_b32 s1, -1, 0
	v_cmp_gt_i32_e32 vcc_lo, s2, v8
	s_and_b32 s1, s1, vcc_lo
	s_and_saveexec_b32 s7, s1
	s_cbranch_execz .LBB0_16
; %bb.1:
	s_load_dwordx8 s[8:15], s[4:5], 0x20
	v_ashrrev_i32_e32 v9, 31, v8
	s_cmp_gt_i32 s3, 0
	s_cselect_b32 s1, -1, 0
	s_cmp_lt_i32 s3, 1
	v_lshlrev_b64 v[0:1], 2, v[8:9]
	s_waitcnt lgkmcnt(0)
	v_add_co_u32 v2, vcc_lo, s12, v0
	v_add_co_ci_u32_e64 v3, null, s13, v1, vcc_lo
	v_add_co_u32 v0, vcc_lo, s10, v0
	v_add_co_ci_u32_e64 v1, null, s11, v1, vcc_lo
	global_load_dword v15, v[2:3], off
	global_load_dword v16, v[0:1], off
	s_clause 0x2
	s_load_dwordx8 s[16:23], s[4:5], 0x0
	s_load_dwordx4 s[24:27], s[4:5], 0x58
	s_load_dword s7, s[4:5], 0x50
	s_cbranch_scc1 .LBB0_5
; %bb.2:
	v_mad_u64_u32 v[0:1], null, s2, s6, v[8:9]
	s_mov_b64 s[4:5], 0
	v_mul_lo_u32 v3, v0, s3
	v_mov_b32_e32 v0, 0
	v_mov_b32_e32 v1, v0
	;; [unrolled: 1-line block ×3, first 2 shown]
	v_ashrrev_i32_e32 v4, 31, v3
	v_mov_b32_e32 v5, v0
	v_mov_b32_e32 v6, v0
	;; [unrolled: 1-line block ×3, first 2 shown]
	v_lshlrev_b64 v[9:10], 2, v[3:4]
	v_mov_b32_e32 v3, v0
	v_mov_b32_e32 v4, v0
	s_waitcnt lgkmcnt(0)
	v_add_co_u32 v9, vcc_lo, s24, v9
	v_add_co_ci_u32_e64 v10, null, s25, v10, vcc_lo
.LBB0_3:                                ; =>This Inner Loop Header: Depth=1
	global_load_dword v11, v[9:10], off
	v_add_co_u32 v9, vcc_lo, v9, 4
	v_add_co_ci_u32_e64 v10, null, 0, v10, vcc_lo
	s_mov_b32 m0, s4
	s_add_u32 s4, s4, 1
	s_addc_u32 s5, s5, 0
	s_cmp_eq_u32 s3, s4
	s_waitcnt vmcnt(0)
	v_movreld_b32_e32 v0, v11
	s_cbranch_scc0 .LBB0_3
; %bb.4:
	s_cmp_lt_i32 s7, 1
	s_cbranch_scc0 .LBB0_6
	s_branch .LBB0_13
.LBB0_5:
	v_mov_b32_e32 v0, 0
	v_mov_b32_e32 v1, v0
	;; [unrolled: 1-line block ×8, first 2 shown]
	s_waitcnt lgkmcnt(0)
	s_cmp_lt_i32 s7, 1
	s_cbranch_scc1 .LBB0_13
.LBB0_6:
	v_mul_lo_u32 v9, v8, s3
	s_bitcmp1_b32 s0, 0
	s_mul_i32 s4, s6, s7
	s_cselect_b32 s0, -1, 0
	s_cmp_lg_u64 s[14:15], 0
	s_mul_i32 s13, s4, s3
	s_cselect_b32 s12, -1, 0
	v_ashrrev_i32_e32 v10, 31, v9
	v_mad_u64_u32 v[11:12], null, s2, s6, v[8:9]
	v_lshlrev_b64 v[9:10], 2, v[9:10]
	v_mul_lo_u32 v17, v11, s7
	v_add_co_u32 v9, vcc_lo, s20, v9
	v_add_co_ci_u32_e64 v10, null, s21, v10, vcc_lo
	s_mov_b32 s20, 0
	s_branch .LBB0_8
.LBB0_7:                                ;   in Loop: Header=BB0_8 Depth=1
	v_add_co_u32 v11, vcc_lo, s26, v11
	v_add_co_ci_u32_e64 v12, null, s27, v12, vcc_lo
	s_add_i32 s20, s20, 1
	s_add_i32 s13, s13, 1
	s_cmp_eq_u32 s20, s7
	global_store_dword v[11:12], v18, off
	s_cbranch_scc1 .LBB0_13
.LBB0_8:                                ; =>This Loop Header: Depth=1
                                        ;     Child Loop BB0_10 Depth 2
	v_add_nc_u32_e32 v11, s20, v17
	v_ashrrev_i32_e32 v12, 31, v11
	v_lshlrev_b64 v[11:12], 2, v[11:12]
	v_add_co_u32 v13, vcc_lo, s16, v11
	v_add_co_ci_u32_e64 v14, null, s17, v12, vcc_lo
	s_andn2_b32 vcc_lo, exec_lo, s1
	global_load_dword v19, v[13:14], off
	s_waitcnt vmcnt(0)
	v_mul_f32_e32 v18, v16, v19
	s_cbranch_vccnz .LBB0_11
; %bb.9:                                ;   in Loop: Header=BB0_8 Depth=1
	v_add_co_u32 v13, vcc_lo, s18, v11
	v_add_co_ci_u32_e64 v14, null, s19, v12, vcc_lo
	s_mov_b64 s[4:5], 0
	s_mov_b32 s10, s13
	global_load_dword v13, v[13:14], off
	s_waitcnt vmcnt(0)
	v_add_f32_e32 v13, v15, v13
	v_mul_f32_e32 v14, 0x3fb8aa3b, v13
	v_exp_f32_e32 v14, v14
	v_add_f32_e32 v14, 1.0, v14
	v_cmp_gt_f32_e32 vcc_lo, 0x800000, v14
	v_cndmask_b32_e64 v20, 0, 32, vcc_lo
	v_cndmask_b32_e64 v21, 0, 0x41b17218, vcc_lo
	v_ldexp_f32 v14, v14, v20
	v_log_f32_e32 v14, v14
	v_mul_f32_e32 v20, 0x3f317217, v14
	v_cmp_gt_f32_e64 vcc_lo, 0x7f800000, |v14|
	v_fma_f32 v20, 0x3f317217, v14, -v20
	v_fmac_f32_e32 v20, 0x3377d1cf, v14
	v_fmac_f32_e32 v20, 0x3f317217, v14
	v_cndmask_b32_e32 v14, v14, v20, vcc_lo
	v_cmp_lt_f32_e32 vcc_lo, 0x41a00000, v13
	v_sub_f32_e32 v14, v14, v21
	v_cndmask_b32_e32 v14, v14, v13, vcc_lo
	v_cndmask_b32_e64 v20, v13, v14, s0
	v_mov_b32_e32 v14, v10
	v_mov_b32_e32 v13, v9
	.p2align	6
.LBB0_10:                               ;   Parent Loop BB0_8 Depth=1
                                        ; =>  This Inner Loop Header: Depth=2
	global_load_dword v21, v[13:14], off
	s_ashr_i32 s11, s10, 31
	s_mov_b32 m0, s4
	s_lshl_b64 s[28:29], s[10:11], 2
	v_movrels_b32_e32 v22, v0
	s_add_u32 s30, s22, s28
	s_addc_u32 s31, s23, s29
	s_add_u32 s28, s8, s28
	s_load_dword s11, s[30:31], 0x0
	s_addc_u32 s29, s9, s29
	v_add_co_u32 v13, vcc_lo, v13, 4
	v_add_co_ci_u32_e64 v14, null, 0, v14, vcc_lo
	s_add_u32 s4, s4, 1
	s_addc_u32 s5, s5, 0
	s_add_i32 s10, s10, s7
	s_cmp_eq_u32 s3, s4
	s_waitcnt lgkmcnt(0)
	v_mul_f32_e32 v23, s11, v20
	s_load_dword s11, s[28:29], 0x0
	s_waitcnt vmcnt(0)
	v_mul_f32_e32 v21, v20, v21
	v_mul_f32_e32 v21, 0x3fb8aa3b, v21
	v_exp_f32_e32 v21, v21
	v_mul_f32_e32 v21, v22, v21
	v_fmac_f32_e32 v21, v19, v23
	s_waitcnt lgkmcnt(0)
	v_fmac_f32_e32 v18, s11, v21
	v_movreld_b32_e32 v0, v21
	s_cbranch_scc0 .LBB0_10
.LBB0_11:                               ;   in Loop: Header=BB0_8 Depth=1
	s_and_b32 vcc_lo, exec_lo, s12
	s_cbranch_vccz .LBB0_7
; %bb.12:                               ;   in Loop: Header=BB0_8 Depth=1
	v_add_co_u32 v13, vcc_lo, s14, v11
	v_add_co_ci_u32_e64 v14, null, s15, v12, vcc_lo
	global_load_dword v13, v[13:14], off
	s_waitcnt vmcnt(0)
	v_mul_f32_e32 v14, 0xbfb8aa3b, v13
	v_exp_f32_e32 v14, v14
	v_add_f32_e32 v14, 1.0, v14
	v_div_scale_f32 v19, null, v14, v14, v13
	v_rcp_f32_e32 v20, v19
	v_fma_f32 v21, -v19, v20, 1.0
	v_fmac_f32_e32 v20, v21, v20
	v_div_scale_f32 v21, vcc_lo, v13, v14, v13
	v_mul_f32_e32 v22, v21, v20
	v_fma_f32 v23, -v19, v22, v21
	v_fmac_f32_e32 v22, v23, v20
	v_fma_f32 v19, -v19, v22, v21
	v_div_fmas_f32 v19, v19, v20, v22
	v_div_fixup_f32 v13, v19, v14, v13
	v_mul_f32_e32 v18, v18, v13
	s_branch .LBB0_7
.LBB0_13:
	s_andn2_b32 vcc_lo, exec_lo, s1
	s_cbranch_vccnz .LBB0_16
; %bb.14:
	v_mad_u64_u32 v[8:9], null, s2, s6, v[8:9]
	s_mov_b64 s[0:1], 0
	v_mul_lo_u32 v8, v8, s3
	v_ashrrev_i32_e32 v9, 31, v8
	v_lshlrev_b64 v[8:9], 2, v[8:9]
	v_add_co_u32 v8, vcc_lo, s24, v8
	v_add_co_ci_u32_e64 v9, null, s25, v9, vcc_lo
.LBB0_15:                               ; =>This Inner Loop Header: Depth=1
	s_mov_b32 m0, s0
	s_add_u32 s0, s0, 1
	v_movrels_b32_e32 v10, v0
	s_addc_u32 s1, s1, 0
	s_cmp_lg_u32 s3, s0
	global_store_dword v[8:9], v10, off
	v_add_co_u32 v8, vcc_lo, v8, 4
	v_add_co_ci_u32_e64 v9, null, 0, v9, vcc_lo
	s_cbranch_scc1 .LBB0_15
.LBB0_16:
	s_endpgm
	.section	.rodata,"a",@progbits
	.p2align	6, 0x0
	.amdhsa_kernel _Z19selective_scan_basePKfS0_S0_S0_S0_S0_S0_S0_biiiiPfS1_
		.amdhsa_group_segment_fixed_size 0
		.amdhsa_private_segment_fixed_size 0
		.amdhsa_kernarg_size 360
		.amdhsa_user_sgpr_count 6
		.amdhsa_user_sgpr_private_segment_buffer 1
		.amdhsa_user_sgpr_dispatch_ptr 0
		.amdhsa_user_sgpr_queue_ptr 0
		.amdhsa_user_sgpr_kernarg_segment_ptr 1
		.amdhsa_user_sgpr_dispatch_id 0
		.amdhsa_user_sgpr_flat_scratch_init 0
		.amdhsa_user_sgpr_private_segment_size 0
		.amdhsa_wavefront_size32 1
		.amdhsa_uses_dynamic_stack 0
		.amdhsa_system_sgpr_private_segment_wavefront_offset 0
		.amdhsa_system_sgpr_workgroup_id_x 1
		.amdhsa_system_sgpr_workgroup_id_y 1
		.amdhsa_system_sgpr_workgroup_id_z 0
		.amdhsa_system_sgpr_workgroup_info 0
		.amdhsa_system_vgpr_workitem_id 0
		.amdhsa_next_free_vgpr 24
		.amdhsa_next_free_sgpr 32
		.amdhsa_reserve_vcc 1
		.amdhsa_reserve_flat_scratch 0
		.amdhsa_float_round_mode_32 0
		.amdhsa_float_round_mode_16_64 0
		.amdhsa_float_denorm_mode_32 3
		.amdhsa_float_denorm_mode_16_64 3
		.amdhsa_dx10_clamp 1
		.amdhsa_ieee_mode 1
		.amdhsa_fp16_overflow 0
		.amdhsa_workgroup_processor_mode 1
		.amdhsa_memory_ordered 1
		.amdhsa_forward_progress 1
		.amdhsa_shared_vgpr_count 0
		.amdhsa_exception_fp_ieee_invalid_op 0
		.amdhsa_exception_fp_denorm_src 0
		.amdhsa_exception_fp_ieee_div_zero 0
		.amdhsa_exception_fp_ieee_overflow 0
		.amdhsa_exception_fp_ieee_underflow 0
		.amdhsa_exception_fp_ieee_inexact 0
		.amdhsa_exception_int_div_zero 0
	.end_amdhsa_kernel
	.text
.Lfunc_end0:
	.size	_Z19selective_scan_basePKfS0_S0_S0_S0_S0_S0_S0_biiiiPfS1_, .Lfunc_end0-_Z19selective_scan_basePKfS0_S0_S0_S0_S0_S0_S0_biiiiPfS1_
                                        ; -- End function
	.set _Z19selective_scan_basePKfS0_S0_S0_S0_S0_S0_S0_biiiiPfS1_.num_vgpr, 24
	.set _Z19selective_scan_basePKfS0_S0_S0_S0_S0_S0_S0_biiiiPfS1_.num_agpr, 0
	.set _Z19selective_scan_basePKfS0_S0_S0_S0_S0_S0_S0_biiiiPfS1_.numbered_sgpr, 32
	.set _Z19selective_scan_basePKfS0_S0_S0_S0_S0_S0_S0_biiiiPfS1_.num_named_barrier, 0
	.set _Z19selective_scan_basePKfS0_S0_S0_S0_S0_S0_S0_biiiiPfS1_.private_seg_size, 0
	.set _Z19selective_scan_basePKfS0_S0_S0_S0_S0_S0_S0_biiiiPfS1_.uses_vcc, 1
	.set _Z19selective_scan_basePKfS0_S0_S0_S0_S0_S0_S0_biiiiPfS1_.uses_flat_scratch, 0
	.set _Z19selective_scan_basePKfS0_S0_S0_S0_S0_S0_S0_biiiiPfS1_.has_dyn_sized_stack, 0
	.set _Z19selective_scan_basePKfS0_S0_S0_S0_S0_S0_S0_biiiiPfS1_.has_recursion, 0
	.set _Z19selective_scan_basePKfS0_S0_S0_S0_S0_S0_S0_biiiiPfS1_.has_indirect_call, 0
	.section	.AMDGPU.csdata,"",@progbits
; Kernel info:
; codeLenInByte = 1148
; TotalNumSgprs: 34
; NumVgprs: 24
; ScratchSize: 0
; MemoryBound: 0
; FloatMode: 240
; IeeeMode: 1
; LDSByteSize: 0 bytes/workgroup (compile time only)
; SGPRBlocks: 0
; VGPRBlocks: 2
; NumSGPRsForWavesPerEU: 34
; NumVGPRsForWavesPerEU: 24
; Occupancy: 16
; WaveLimiterHint : 0
; COMPUTE_PGM_RSRC2:SCRATCH_EN: 0
; COMPUTE_PGM_RSRC2:USER_SGPR: 6
; COMPUTE_PGM_RSRC2:TRAP_HANDLER: 0
; COMPUTE_PGM_RSRC2:TGID_X_EN: 1
; COMPUTE_PGM_RSRC2:TGID_Y_EN: 1
; COMPUTE_PGM_RSRC2:TGID_Z_EN: 0
; COMPUTE_PGM_RSRC2:TIDIG_COMP_CNT: 0
	.section	.text._Z26selective_scan_vllm_kernelI18SSMFwdKernelTraitsILi128ELi4ELi8ELb1ELb1ELb1EEEv13SSMParamsBase,"axG",@progbits,_Z26selective_scan_vllm_kernelI18SSMFwdKernelTraitsILi128ELi4ELi8ELb1ELb1ELb1EEEv13SSMParamsBase,comdat
	.protected	_Z26selective_scan_vllm_kernelI18SSMFwdKernelTraitsILi128ELi4ELi8ELb1ELb1ELb1EEEv13SSMParamsBase ; -- Begin function _Z26selective_scan_vllm_kernelI18SSMFwdKernelTraitsILi128ELi4ELi8ELb1ELb1ELb1EEEv13SSMParamsBase
	.globl	_Z26selective_scan_vllm_kernelI18SSMFwdKernelTraitsILi128ELi4ELi8ELb1ELb1ELb1EEEv13SSMParamsBase
	.p2align	8
	.type	_Z26selective_scan_vllm_kernelI18SSMFwdKernelTraitsILi128ELi4ELi8ELb1ELb1ELb1EEEv13SSMParamsBase,@function
_Z26selective_scan_vllm_kernelI18SSMFwdKernelTraitsILi128ELi4ELi8ELb1ELb1ELb1EEEv13SSMParamsBase: ; @_Z26selective_scan_vllm_kernelI18SSMFwdKernelTraitsILi128ELi4ELi8ELb1ELb1ELb1EEEv13SSMParamsBase
; %bb.0:
	s_add_u32 s0, s0, s8
	s_clause 0x1
	s_load_dword s8, s[4:5], 0x4
	s_load_dword s33, s[4:5], 0x10
	s_addc_u32 s1, s1, 0
	s_clause 0x3
	s_load_dwordx16 s[36:51], s[4:5], 0x18
	s_load_dwordx8 s[24:31], s[4:5], 0x58
	s_load_dwordx2 s[52:53], s[4:5], 0x88
	s_load_dwordx4 s[20:23], s[4:5], 0x78
	v_cmp_eq_u32_e64 s5, 0, v0
	s_abs_i32 s12, s6
	s_ashr_i32 s11, s6, 31
	s_mov_b32 s56, 0
	s_waitcnt lgkmcnt(0)
	s_abs_i32 s9, s8
	s_ashr_i32 s13, s8, 31
	v_cvt_f32_u32_e32 v1, s9
	s_sub_i32 s4, 0, s9
	v_rcp_iflag_f32_e32 v1, v1
	v_mul_f32_e32 v1, 0x4f7ffffe, v1
	v_cvt_u32_f32_e32 v1, v1
	v_readfirstlane_b32 s10, v1
	s_mul_i32 s4, s4, s10
	s_mul_hi_u32 s14, s10, s4
	v_cmp_ne_u32_e64 s4, 0, v0
	s_add_i32 s10, s10, s14
	s_mul_hi_u32 s10, s12, s10
	s_and_saveexec_b32 s14, s5
	s_cbranch_execz .LBB1_2
; %bb.1:
	v_mov_b32_e32 v1, 0x7f
	v_mov_b32_e32 v2, 3
	;; [unrolled: 1-line block ×3, first 2 shown]
	ds_write_b64 v3, v[1:2] offset:36960
.LBB1_2:
	s_or_b32 exec_lo, exec_lo, s14
	s_mul_i32 s14, s10, s9
	s_xor_b32 s11, s11, s13
	s_sub_i32 s12, s12, s14
	s_add_i32 s13, s10, 1
	s_sub_i32 s14, s12, s9
	s_cmp_ge_u32 s12, s9
	v_lshlrev_b32_e32 v9, 2, v0
	s_cselect_b32 s10, s13, s10
	s_cselect_b32 s12, s14, s12
	s_add_i32 s13, s10, 1
	s_cmp_ge_u32 s12, s9
	s_waitcnt lgkmcnt(0)
	s_cselect_b32 s9, s13, s10
	s_lshl_b32 s57, s7, 9
	s_xor_b32 s9, s9, s11
	v_or_b32_e32 v1, s57, v9
	s_sub_i32 s58, s9, s11
	s_barrier
	s_mul_i32 s10, s58, s8
	s_mul_i32 s8, s58, s20
	s_sub_i32 s54, s6, s10
	s_ashr_i32 s9, s8, 31
	v_ashrrev_i32_e32 v2, 31, v1
	s_lshl_b64 s[34:35], s[8:9], 2
	s_mul_i32 s8, s54, s21
	s_add_u32 s10, s36, s34
	s_addc_u32 s11, s37, s35
	s_ashr_i32 s9, s8, 31
	v_lshlrev_b64 v[1:2], 2, v[1:2]
	s_lshl_b64 s[36:37], s[8:9], 2
	buffer_gl0_inv
	s_add_u32 s8, s10, s36
	s_addc_u32 s9, s11, s37
	s_add_u32 s10, s38, s34
	s_addc_u32 s11, s39, s35
	;; [unrolled: 2-line block ×3, first 2 shown]
	v_add_co_u32 v3, vcc_lo, s10, v1
	v_add_co_ci_u32_e64 v4, null, s11, v2, vcc_lo
	v_add_co_u32 v7, vcc_lo, s8, v1
	v_add_co_ci_u32_e64 v8, null, s9, v2, vcc_lo
	global_load_dwordx4 v[3:6], v[3:4], off
	s_ashr_i32 s55, s54, 31
	v_or_b32_e32 v15, 31, v0
	global_load_dwordx4 v[18:21], v[7:8], off
	s_lshl_b64 s[38:39], s[54:55], 2
	v_lshlrev_b32_e32 v17, 3, v0
	s_add_u32 s8, s48, s38
	s_addc_u32 s9, s49, s39
	v_mbcnt_lo_u32_b32 v14, -1, 0
	s_load_dword s10, s[8:9], 0x0
	v_cmp_eq_u32_e64 s9, v0, v15
	v_sub_nc_u32_e32 v29, 0, v17
	s_mul_i32 s48, s6, s33
	v_and_b32_e32 v22, 15, v14
	v_and_b32_e32 v23, 16, v14
	;; [unrolled: 1-line block ×3, first 2 shown]
	v_lshrrev_b32_e32 v16, 2, v0
	v_mov_b32_e32 v10, 0
	v_cmp_ne_u32_e64 s11, 0, v22
	v_cmp_lt_u32_e64 s12, 1, v22
	v_cmp_lt_u32_e64 s13, 3, v22
	;; [unrolled: 1-line block ×3, first 2 shown]
	v_cmp_ne_u32_e64 s15, 0, v23
	v_and_b32_e32 v16, 24, v16
	v_cmp_lt_u32_e64 s17, 1, v30
	v_lshl_add_u32 v11, v0, 4, 0
	ds_read_b64 v[7:8], v10 offset:36960
	v_cmp_gt_u32_e64 s19, 4, v0
	v_cmp_lt_u32_e64 s8, 31, v0
	v_add_nc_u32_e32 v12, 0x820, v11
	v_add_nc_u32_e32 v13, 0x828, v11
	s_waitcnt vmcnt(1) lgkmcnt(0)
	v_add_f32_e32 v3, s10, v3
	v_add_f32_e32 v4, s10, v4
	;; [unrolled: 1-line block ×4, first 2 shown]
	v_sub_co_u32 v24, s10, v14, 1
	v_mul_f32_e32 v15, 0x3fb8aa3b, v3
	v_mul_f32_e32 v25, 0x3fb8aa3b, v4
	;; [unrolled: 1-line block ×4, first 2 shown]
	v_cmp_gt_i32_e64 s16, 0, v24
	v_exp_f32_e32 v28, v15
	v_exp_f32_e32 v25, v25
	;; [unrolled: 1-line block ×4, first 2 shown]
	v_cndmask_b32_e64 v14, v24, v14, s16
	v_cmp_ne_u32_e64 s16, 0, v30
	v_add_nc_u32_e32 v15, 0x1020, v11
	v_add_f32_e32 v17, 1.0, v28
	v_add_f32_e32 v25, 1.0, v25
	;; [unrolled: 1-line block ×4, first 2 shown]
	v_cmp_gt_f32_e32 vcc_lo, 0x800000, v17
	v_cmp_gt_f32_e64 s6, 0x800000, v25
	v_cmp_gt_f32_e64 s18, 0x800000, v26
	;; [unrolled: 1-line block ×3, first 2 shown]
	v_cndmask_b32_e64 v28, 0, 32, vcc_lo
	v_cndmask_b32_e64 v31, 0, 32, s6
	v_cndmask_b32_e64 v32, 0, 32, s18
	;; [unrolled: 1-line block ×3, first 2 shown]
	v_ldexp_f32 v17, v17, v28
	v_ldexp_f32 v22, v25, v31
	;; [unrolled: 1-line block ×4, first 2 shown]
	v_cndmask_b32_e64 v31, 0, 0x41b17218, s6
	v_log_f32_e32 v23, v17
	v_log_f32_e32 v22, v22
	;; [unrolled: 1-line block ×4, first 2 shown]
	v_add_nc_u32_e32 v17, 0, v16
	v_cndmask_b32_e64 v16, 0, 0x41b17218, vcc_lo
	v_cndmask_b32_e64 v32, 0, 0x41b17218, s18
	v_cndmask_b32_e64 v33, 0, 0x41b17218, s20
	s_add_u32 s20, s46, s38
	s_addc_u32 s21, s47, s39
	v_mul_f32_e32 v24, 0x3f317217, v23
	v_mul_f32_e32 v27, 0x3f317217, v22
	;; [unrolled: 1-line block ×4, first 2 shown]
	v_cmp_gt_f32_e64 vcc_lo, 0x7f800000, |v23|
	v_fma_f32 v24, 0x3f317217, v23, -v24
	v_fma_f32 v27, 0x3f317217, v22, -v27
	;; [unrolled: 1-line block ×4, first 2 shown]
	s_mul_i32 s6, s58, s22
	v_fmac_f32_e32 v24, 0x3377d1cf, v23
	v_fmac_f32_e32 v27, 0x3377d1cf, v22
	;; [unrolled: 1-line block ×4, first 2 shown]
	s_mul_i32 s58, s58, s52
	v_fmac_f32_e32 v24, 0x3f317217, v23
	v_fmac_f32_e32 v27, 0x3f317217, v22
	;; [unrolled: 1-line block ×4, first 2 shown]
	v_cmp_eq_u32_e64 s18, v0, v7
	v_cndmask_b32_e32 v23, v23, v24, vcc_lo
	v_cmp_gt_f32_e64 vcc_lo, 0x7f800000, |v22|
	v_sub_f32_e32 v16, v23, v16
	v_cndmask_b32_e32 v22, v22, v27, vcc_lo
	v_cmp_gt_f32_e64 vcc_lo, 0x7f800000, |v25|
	v_sub_f32_e32 v22, v22, v31
	;; [unrolled: 3-line block ×3, first 2 shown]
	v_cndmask_b32_e32 v25, v26, v30, vcc_lo
	v_cmp_lt_f32_e32 vcc_lo, 0x41a00000, v3
	v_sub_f32_e32 v24, v25, v33
	v_cndmask_b32_e32 v3, v16, v3, vcc_lo
	v_cmp_lt_f32_e32 vcc_lo, 0x41a00000, v4
	v_cndmask_b32_e32 v4, v22, v4, vcc_lo
	v_cmp_lt_f32_e32 vcc_lo, 0x41a00000, v5
	;; [unrolled: 2-line block ×3, first 2 shown]
	v_cndmask_b32_e32 v6, v24, v6, vcc_lo
	s_waitcnt vmcnt(0)
	ds_write2_b32 v11, v18, v19 offset0:8 offset1:9
	ds_write2_b32 v11, v20, v21 offset0:10 offset1:11
	ds_write2_b32 v12, v3, v4 offset1:1
	ds_write2_b32 v13, v5, v6 offset1:1
	s_waitcnt lgkmcnt(0)
	s_barrier
	buffer_gl0_inv
	s_load_dword s38, s[20:21], 0x0
	ds_read2_b32 v[4:5], v11 offset0:8 offset1:9
	ds_read2_b32 v[23:24], v11 offset0:10 offset1:11
	v_lshlrev_b32_e32 v6, 3, v8
	s_lshl_b32 s20, s54, 3
	s_cmp_lg_u32 s7, 0
	v_add3_u32 v3, s6, s57, v9
	s_cselect_b32 s22, -1, 0
	s_ashr_i32 s21, s20, 31
	s_mul_i32 s6, s54, s53
	v_lshlrev_b32_e32 v20, 2, v14
	v_add_nc_u32_e32 v21, -8, v17
	v_mov_b32_e32 v22, v6
	s_lshl_b64 s[20:21], s[20:21], 2
	s_add_i32 s6, s6, s58
	s_ashr_i32 s46, s7, 31
	s_lshl_b32 s47, s48, 3
	s_add_u32 s20, s40, s20
	s_addc_u32 s21, s41, s21
	s_mov_b32 s48, 0
	s_waitcnt lgkmcnt(0)
	v_mul_f32_e32 v19, s38, v4
	v_mul_f32_e32 v18, s38, v5
	;; [unrolled: 1-line block ×4, first 2 shown]
	v_add_nc_u32_e32 v23, v11, v29
	s_mov_b32 s38, s6
	s_branch .LBB1_4
.LBB1_3:                                ;   in Loop: Header=BB1_4 Depth=1
	s_or_b32 exec_lo, exec_lo, s39
	v_fmac_f32_e32 v24, v5, v27
	v_fmac_f32_e32 v28, v5, v26
	;; [unrolled: 1-line block ×4, first 2 shown]
	s_addk_i32 s48, 0x800
	s_waitcnt lgkmcnt(1)
	v_fmac_f32_e32 v19, v8, v24
	v_fmac_f32_e32 v18, v9, v28
	s_waitcnt lgkmcnt(0)
	v_fmac_f32_e32 v16, v6, v30
	v_fmac_f32_e32 v14, v7, v31
	s_add_i32 s56, s56, 4
	v_add_nc_u32_e32 v3, s23, v3
	s_add_i32 s38, s38, 1
	s_add_i32 s47, s47, s33
	s_add_u32 s20, s20, 4
	s_addc_u32 s21, s21, 0
	s_cmpk_eq_i32 s48, 0x4000
	s_waitcnt_vscnt null, 0x0
	s_barrier
	buffer_gl0_inv
	s_cbranch_scc1 .LBB1_32
.LBB1_4:                                ; =>This Inner Loop Header: Depth=1
	s_and_saveexec_b32 s49, s5
	s_cbranch_execz .LBB1_9
; %bb.5:                                ;   in Loop: Header=BB1_4 Depth=1
	s_and_b32 vcc_lo, exec_lo, s22
	s_cbranch_vccz .LBB1_31
; %bb.6:                                ;   in Loop: Header=BB1_4 Depth=1
	s_ashr_i32 s39, s47, 31
	s_add_u32 s40, s7, s47
	s_addc_u32 s41, s46, s39
	s_lshl_b64 s[40:41], s[40:41], 2
	s_add_u32 s52, s28, s40
	s_addc_u32 s53, s29, s41
	s_add_u32 s39, s30, s40
	global_load_dword v4, v10, s[52:53] offset:-4
	s_addc_u32 s41, s31, s41
	s_add_u32 s40, s39, -4
	s_addc_u32 s41, s41, -1
	s_cbranch_execnz .LBB1_8
.LBB1_7:                                ;   in Loop: Header=BB1_4 Depth=1
	s_ashr_i32 s39, s38, 31
	s_waitcnt vmcnt(0)
	v_mov_b32_e32 v4, 1.0
	s_lshl_b64 s[40:41], s[38:39], 2
	s_add_u32 s40, s24, s40
	s_addc_u32 s41, s25, s41
.LBB1_8:                                ;   in Loop: Header=BB1_4 Depth=1
	global_load_dword v5, v10, s[40:41]
	v_add_nc_u32_e64 v6, 0x9000, s56
	s_waitcnt vmcnt(0)
	ds_write2_b32 v6, v4, v5 offset0:8 offset1:16
.LBB1_9:                                ;   in Loop: Header=BB1_4 Depth=1
	s_or_b32 exec_lo, exec_lo, s49
	v_ashrrev_i32_e32 v4, 31, v3
	v_add_nc_u32_e64 v36, 0x9000, s56
	v_lshlrev_b64 v[4:5], 2, v[3:4]
	v_add_co_u32 v6, vcc_lo, s42, v4
	v_add_co_ci_u32_e64 v7, null, s43, v5, vcc_lo
	v_add_co_u32 v8, vcc_lo, s44, v4
	v_add_co_ci_u32_e64 v9, null, s45, v5, vcc_lo
	global_load_dwordx4 v[4:7], v[6:7], off
	global_load_dwordx4 v[26:29], v[8:9], off
	v_add_nc_u32_e32 v9, s48, v15
	v_add_nc_u32_e32 v8, 0x4000, v9
	;; [unrolled: 1-line block ×3, first 2 shown]
	s_waitcnt vmcnt(1)
	ds_write2_b32 v9, v4, v5 offset1:1
	s_waitcnt vmcnt(0)
	ds_write2_b32 v8, v26, v27 offset1:1
	ds_write2_b32 v9, v6, v7 offset0:2 offset1:3
	ds_write2_b32 v25, v28, v29 offset1:1
	s_waitcnt lgkmcnt(0)
	s_barrier
	buffer_gl0_inv
	global_load_dword v24, v10, s[20:21]
	ds_read2_b32 v[4:5], v12 offset1:1
	ds_read2_b32 v[6:7], v9 offset0:2 offset1:3
	ds_read2_b32 v[28:29], v13 offset1:1
	ds_read2_b32 v[30:31], v9 offset1:1
	ds_read2_b32 v[32:33], v11 offset0:8 offset1:9
	ds_read2_b32 v[38:39], v11 offset0:10 offset1:11
	s_waitcnt lgkmcnt(3)
	v_mul_f32_e32 v6, v28, v6
	v_mul_f32_e32 v7, v29, v7
	s_waitcnt vmcnt(0)
	v_mul_f32_e32 v9, v4, v24
	v_mul_f32_e32 v26, v5, v24
	;; [unrolled: 1-line block ×3, first 2 shown]
	s_waitcnt lgkmcnt(2)
	v_mul_f32_e32 v4, v4, v30
	v_mul_f32_e32 v30, v29, v24
	;; [unrolled: 1-line block ×6, first 2 shown]
	s_waitcnt lgkmcnt(1)
	v_mul_f32_e32 v24, v32, v4
	v_exp_f32_e32 v27, v9
	v_exp_f32_e32 v35, v26
	v_mul_f32_e32 v4, 0x3fb8aa3b, v30
	v_exp_f32_e32 v37, v34
	v_mul_f32_e32 v9, v33, v5
	s_waitcnt lgkmcnt(0)
	v_mul_f32_e32 v33, v38, v6
	v_exp_f32_e32 v34, v4
	ds_read2_b32 v[4:5], v36 offset0:8 offset1:16
	v_mul_f32_e32 v36, v39, v7
	v_mul_f32_e32 v26, v27, v35
	v_fma_f32 v28, v24, v35, v9
	v_mul_f32_e32 v29, v26, v37
	v_fma_f32 v30, v28, v37, v33
	;; [unrolled: 2-line block ×3, first 2 shown]
	v_mov_b32_dpp v6, v32 row_shr:1 row_mask:0xf bank_mask:0xf
	v_mov_b32_dpp v7, v31 row_shr:1 row_mask:0xf bank_mask:0xf
	v_mov_b32_e32 v38, v31
	v_mov_b32_e32 v39, v32
	s_and_saveexec_b32 s39, s11
; %bb.10:                               ;   in Loop: Header=BB1_4 Depth=1
	v_mov_b32_e32 v38, v31
	v_mul_f32_e32 v39, v32, v6
	v_fmac_f32_e32 v38, v32, v7
; %bb.11:                               ;   in Loop: Header=BB1_4 Depth=1
	s_or_b32 exec_lo, exec_lo, s39
	v_mov_b32_dpp v7, v39 row_shr:2 row_mask:0xf bank_mask:0xf
	v_mov_b32_dpp v6, v38 row_shr:2 row_mask:0xf bank_mask:0xf
	s_and_saveexec_b32 s39, s12
; %bb.12:                               ;   in Loop: Header=BB1_4 Depth=1
	v_mul_f32_e32 v7, v39, v7
	v_fmac_f32_e32 v38, v39, v6
	v_mov_b32_e32 v39, v7
; %bb.13:                               ;   in Loop: Header=BB1_4 Depth=1
	s_or_b32 exec_lo, exec_lo, s39
	v_mov_b32_dpp v7, v39 row_shr:4 row_mask:0xf bank_mask:0xf
	v_mov_b32_dpp v6, v38 row_shr:4 row_mask:0xf bank_mask:0xf
	s_and_saveexec_b32 s39, s13
; %bb.14:                               ;   in Loop: Header=BB1_4 Depth=1
	v_mul_f32_e32 v7, v39, v7
	v_fmac_f32_e32 v38, v39, v6
	v_mov_b32_e32 v39, v7
	;; [unrolled: 9-line block ×3, first 2 shown]
; %bb.17:                               ;   in Loop: Header=BB1_4 Depth=1
	s_or_b32 exec_lo, exec_lo, s39
	ds_swizzle_b32 v6, v39 offset:swizzle(BROADCAST,32,15)
	ds_swizzle_b32 v7, v38 offset:swizzle(BROADCAST,32,15)
	s_and_saveexec_b32 s39, s15
	s_cbranch_execz .LBB1_19
; %bb.18:                               ;   in Loop: Header=BB1_4 Depth=1
	s_waitcnt lgkmcnt(0)
	v_fmac_f32_e32 v38, v39, v7
	v_mul_f32_e32 v39, v39, v6
.LBB1_19:                               ;   in Loop: Header=BB1_4 Depth=1
	s_or_b32 exec_lo, exec_lo, s39
	s_and_saveexec_b32 s39, s9
; %bb.20:                               ;   in Loop: Header=BB1_4 Depth=1
	ds_write2_b32 v17, v39, v38 offset1:1
; %bb.21:                               ;   in Loop: Header=BB1_4 Depth=1
	s_or_b32 exec_lo, exec_lo, s39
	s_waitcnt lgkmcnt(0)
	s_barrier
	buffer_gl0_inv
	s_and_saveexec_b32 s39, s19
	s_cbranch_execz .LBB1_25
; %bb.22:                               ;   in Loop: Header=BB1_4 Depth=1
	ds_read2_b32 v[6:7], v23 offset1:1
	s_waitcnt lgkmcnt(0)
	v_mov_b32_dpp v40, v6 row_shr:1 row_mask:0xf bank_mask:0xf
	v_mov_b32_dpp v41, v7 row_shr:1 row_mask:0xf bank_mask:0xf
	s_and_saveexec_b32 s40, s16
; %bb.23:                               ;   in Loop: Header=BB1_4 Depth=1
	v_fma_f32 v7, v6, v41, v7
	v_mul_f32_e32 v6, v6, v40
; %bb.24:                               ;   in Loop: Header=BB1_4 Depth=1
	s_or_b32 exec_lo, exec_lo, s40
	v_mov_b32_dpp v40, v6 row_shr:2 row_mask:0xf bank_mask:0xf
	v_mov_b32_dpp v41, v7 row_shr:2 row_mask:0xf bank_mask:0xf
	v_mul_f32_e32 v40, v6, v40
	v_fma_f32 v41, v6, v41, v7
	v_cndmask_b32_e64 v6, v6, v40, s17
	v_cndmask_b32_e64 v7, v7, v41, s17
	ds_write2_b32 v23, v6, v7 offset1:1
.LBB1_25:                               ;   in Loop: Header=BB1_4 Depth=1
	s_or_b32 exec_lo, exec_lo, s39
	s_waitcnt lgkmcnt(0)
	s_barrier
	buffer_gl0_inv
                                        ; implicit-def: $vgpr7
	s_and_saveexec_b32 s39, s8
	s_cbranch_execz .LBB1_27
; %bb.26:                               ;   in Loop: Header=BB1_4 Depth=1
	ds_read2_b32 v[6:7], v21 offset1:1
	s_waitcnt lgkmcnt(0)
	v_mul_f32_e32 v40, v39, v6
	v_fmac_f32_e32 v38, v39, v7
	v_mov_b32_e32 v39, v40
.LBB1_27:                               ;   in Loop: Header=BB1_4 Depth=1
	s_or_b32 exec_lo, exec_lo, s39
	ds_bpermute_b32 v39, v20, v39
	ds_bpermute_b32 v38, v20, v38
	s_and_saveexec_b32 s39, s4
	s_cbranch_execz .LBB1_29
; %bb.28:                               ;   in Loop: Header=BB1_4 Depth=1
	s_waitcnt lgkmcnt(0)
	v_cndmask_b32_e64 v7, v38, v7, s10
	v_cndmask_b32_e64 v6, v39, v6, s10
	;;#ASMSTART
	;;#ASMEND
	v_fmac_f32_e32 v24, v27, v7
	v_mul_f32_e32 v27, v27, v6
	v_fmac_f32_e32 v9, v24, v35
	v_mul_f32_e32 v26, v27, v35
	;; [unrolled: 2-line block ×3, first 2 shown]
	v_mov_b32_e32 v28, v9
	v_fmac_f32_e32 v36, v33, v34
	v_mul_f32_e32 v32, v29, v34
	v_mov_b32_e32 v30, v33
	v_mov_b32_e32 v31, v36
.LBB1_29:                               ;   in Loop: Header=BB1_4 Depth=1
	s_or_b32 exec_lo, exec_lo, s39
	buffer_store_dword v27, off, s[0:3], 0
	buffer_store_dword v24, off, s[0:3], 0 offset:4
	buffer_store_dword v26, off, s[0:3], 0 offset:8
	buffer_store_dword v28, off, s[0:3], 0 offset:12
	buffer_store_dword v29, off, s[0:3], 0 offset:16
	buffer_store_dword v30, off, s[0:3], 0 offset:20
	buffer_store_dword v32, off, s[0:3], 0 offset:24
	buffer_store_dword v31, off, s[0:3], 0 offset:28
	s_waitcnt lgkmcnt(0)
	s_waitcnt_vscnt null, 0x0
	s_barrier
	buffer_gl0_inv
	ds_read2_b32 v[8:9], v8 offset1:1
	ds_read2_b32 v[6:7], v25 offset1:1
	s_and_saveexec_b32 s39, s18
	s_cbranch_execz .LBB1_3
; %bb.30:                               ;   in Loop: Header=BB1_4 Depth=1
	s_clause 0x1
	buffer_load_dword v25, v22, s[0:3], 0 offen
	buffer_load_dword v33, v22, s[0:3], 0 offen offset:4
	s_add_i32 s40, s7, s47
	v_add_nc_u32_e64 v34, 0x9000, s56
	s_ashr_i32 s41, s40, 31
	s_lshl_b64 s[40:41], s[40:41], 2
	s_add_u32 s52, s28, s40
	s_addc_u32 s53, s29, s41
	s_add_u32 s40, s30, s40
	s_addc_u32 s41, s31, s41
	s_waitcnt vmcnt(1)
	v_mul_f32_e32 v4, v4, v25
	s_waitcnt vmcnt(0)
	v_fmac_f32_e32 v33, v5, v25
	global_store_dword v10, v4, s[52:53]
	global_store_dword v10, v33, s[40:41]
	ds_write2_b32 v34, v4, v33 offset0:8 offset1:16
	s_branch .LBB1_3
.LBB1_31:                               ;   in Loop: Header=BB1_4 Depth=1
                                        ; implicit-def: $sgpr40_sgpr41
                                        ; implicit-def: $vgpr4
	s_branch .LBB1_7
.LBB1_32:
	s_add_u32 s4, s50, s34
	s_addc_u32 s5, s51, s35
	s_add_u32 s4, s4, s36
	s_addc_u32 s5, s5, s37
	v_add_co_u32 v3, vcc_lo, s4, v1
	v_add_co_ci_u32_e64 v4, null, s5, v2, vcc_lo
	s_add_u32 s4, s26, s34
	s_addc_u32 s5, s27, s35
	s_add_u32 s4, s4, s36
	global_load_dword v5, v[3:4], off
	s_addc_u32 s5, s5, s37
	s_add_i32 s33, s33, -1
	s_cmp_eq_u32 s7, s33
	s_waitcnt vmcnt(0)
	v_mul_f32_e32 v6, 0xbfb8aa3b, v5
	v_exp_f32_e32 v6, v6
	v_add_f32_e32 v6, 1.0, v6
	v_div_scale_f32 v7, null, v6, v6, v5
	v_div_scale_f32 v10, vcc_lo, v5, v6, v5
	v_rcp_f32_e32 v8, v7
	v_fma_f32 v9, -v7, v8, 1.0
	v_fmac_f32_e32 v8, v9, v8
	v_mul_f32_e32 v9, v10, v8
	v_fma_f32 v11, -v7, v9, v10
	v_fmac_f32_e32 v9, v11, v8
	v_fma_f32 v7, -v7, v9, v10
	v_div_fmas_f32 v7, v7, v8, v9
	v_add_co_u32 v1, vcc_lo, s4, v1
	v_add_co_ci_u32_e64 v2, null, s5, v2, vcc_lo
	v_div_fixup_f32 v5, v7, v6, v5
	s_cselect_b32 s4, -1, 0
	v_mul_f32_e32 v5, v19, v5
	global_store_dword v[1:2], v5, off
	global_load_dword v5, v[3:4], off offset:4
	s_waitcnt vmcnt(0)
	v_mul_f32_e32 v6, 0xbfb8aa3b, v5
	v_exp_f32_e32 v6, v6
	v_add_f32_e32 v6, 1.0, v6
	v_div_scale_f32 v7, null, v6, v6, v5
	v_div_scale_f32 v10, vcc_lo, v5, v6, v5
	v_rcp_f32_e32 v8, v7
	v_fma_f32 v9, -v7, v8, 1.0
	v_fmac_f32_e32 v8, v9, v8
	v_mul_f32_e32 v9, v10, v8
	v_fma_f32 v11, -v7, v9, v10
	v_fmac_f32_e32 v9, v11, v8
	v_fma_f32 v7, -v7, v9, v10
	v_div_fmas_f32 v7, v7, v8, v9
	v_div_fixup_f32 v5, v7, v6, v5
	v_mul_f32_e32 v5, v18, v5
	global_store_dword v[1:2], v5, off offset:4
	global_load_dword v5, v[3:4], off offset:8
	s_waitcnt vmcnt(0)
	v_mul_f32_e32 v6, 0xbfb8aa3b, v5
	v_exp_f32_e32 v6, v6
	v_add_f32_e32 v6, 1.0, v6
	v_div_scale_f32 v7, null, v6, v6, v5
	v_div_scale_f32 v10, vcc_lo, v5, v6, v5
	v_rcp_f32_e32 v8, v7
	v_fma_f32 v9, -v7, v8, 1.0
	v_fmac_f32_e32 v8, v9, v8
	v_mul_f32_e32 v9, v10, v8
	v_fma_f32 v11, -v7, v9, v10
	v_fmac_f32_e32 v9, v11, v8
	v_fma_f32 v7, -v7, v9, v10
	v_div_fmas_f32 v7, v7, v8, v9
	v_div_fixup_f32 v5, v7, v6, v5
	v_mul_f32_e32 v5, v16, v5
	global_store_dword v[1:2], v5, off offset:8
	global_load_dword v3, v[3:4], off offset:12
	s_waitcnt vmcnt(0)
	v_mul_f32_e32 v4, 0xbfb8aa3b, v3
	v_exp_f32_e32 v4, v4
	v_add_f32_e32 v4, 1.0, v4
	v_div_scale_f32 v5, null, v4, v4, v3
	v_div_scale_f32 v8, vcc_lo, v3, v4, v3
	v_rcp_f32_e32 v6, v5
	v_fma_f32 v7, -v5, v6, 1.0
	v_fmac_f32_e32 v6, v7, v6
	v_mul_f32_e32 v7, v8, v6
	v_fma_f32 v9, -v5, v7, v8
	v_fmac_f32_e32 v7, v9, v6
	v_fma_f32 v5, -v5, v7, v8
	v_div_fmas_f32 v5, v5, v6, v7
	v_cmp_gt_u32_e32 vcc_lo, 8, v0
	v_div_fixup_f32 v3, v5, v4, v3
	s_and_b32 s4, s4, vcc_lo
	v_mul_f32_e32 v3, v14, v3
	global_store_dword v[1:2], v3, off offset:12
	s_and_saveexec_b32 s5, s4
	s_cbranch_execz .LBB1_34
; %bb.33:
	v_lshl_add_u32 v1, v0, 2, 0
	v_add_nc_u32_e32 v0, s6, v0
	ds_read_b32 v2, v1 offset:36928
	v_ashrrev_i32_e32 v1, 31, v0
	v_lshlrev_b64 v[0:1], 2, v[0:1]
	v_add_co_u32 v0, vcc_lo, s24, v0
	v_add_co_ci_u32_e64 v1, null, s25, v1, vcc_lo
	s_waitcnt lgkmcnt(0)
	global_store_dword v[0:1], v2, off
.LBB1_34:
	s_endpgm
	.section	.rodata,"a",@progbits
	.p2align	6, 0x0
	.amdhsa_kernel _Z26selective_scan_vllm_kernelI18SSMFwdKernelTraitsILi128ELi4ELi8ELb1ELb1ELb1EEEv13SSMParamsBase
		.amdhsa_group_segment_fixed_size 0
		.amdhsa_private_segment_fixed_size 48
		.amdhsa_kernarg_size 144
		.amdhsa_user_sgpr_count 6
		.amdhsa_user_sgpr_private_segment_buffer 1
		.amdhsa_user_sgpr_dispatch_ptr 0
		.amdhsa_user_sgpr_queue_ptr 0
		.amdhsa_user_sgpr_kernarg_segment_ptr 1
		.amdhsa_user_sgpr_dispatch_id 0
		.amdhsa_user_sgpr_flat_scratch_init 0
		.amdhsa_user_sgpr_private_segment_size 0
		.amdhsa_wavefront_size32 1
		.amdhsa_uses_dynamic_stack 0
		.amdhsa_system_sgpr_private_segment_wavefront_offset 1
		.amdhsa_system_sgpr_workgroup_id_x 1
		.amdhsa_system_sgpr_workgroup_id_y 1
		.amdhsa_system_sgpr_workgroup_id_z 0
		.amdhsa_system_sgpr_workgroup_info 0
		.amdhsa_system_vgpr_workitem_id 0
		.amdhsa_next_free_vgpr 42
		.amdhsa_next_free_sgpr 59
		.amdhsa_reserve_vcc 1
		.amdhsa_reserve_flat_scratch 0
		.amdhsa_float_round_mode_32 0
		.amdhsa_float_round_mode_16_64 0
		.amdhsa_float_denorm_mode_32 3
		.amdhsa_float_denorm_mode_16_64 3
		.amdhsa_dx10_clamp 1
		.amdhsa_ieee_mode 1
		.amdhsa_fp16_overflow 0
		.amdhsa_workgroup_processor_mode 1
		.amdhsa_memory_ordered 1
		.amdhsa_forward_progress 1
		.amdhsa_shared_vgpr_count 0
		.amdhsa_exception_fp_ieee_invalid_op 0
		.amdhsa_exception_fp_denorm_src 0
		.amdhsa_exception_fp_ieee_div_zero 0
		.amdhsa_exception_fp_ieee_overflow 0
		.amdhsa_exception_fp_ieee_underflow 0
		.amdhsa_exception_fp_ieee_inexact 0
		.amdhsa_exception_int_div_zero 0
	.end_amdhsa_kernel
	.section	.text._Z26selective_scan_vllm_kernelI18SSMFwdKernelTraitsILi128ELi4ELi8ELb1ELb1ELb1EEEv13SSMParamsBase,"axG",@progbits,_Z26selective_scan_vllm_kernelI18SSMFwdKernelTraitsILi128ELi4ELi8ELb1ELb1ELb1EEEv13SSMParamsBase,comdat
.Lfunc_end1:
	.size	_Z26selective_scan_vllm_kernelI18SSMFwdKernelTraitsILi128ELi4ELi8ELb1ELb1ELb1EEEv13SSMParamsBase, .Lfunc_end1-_Z26selective_scan_vllm_kernelI18SSMFwdKernelTraitsILi128ELi4ELi8ELb1ELb1ELb1EEEv13SSMParamsBase
                                        ; -- End function
	.set _Z26selective_scan_vllm_kernelI18SSMFwdKernelTraitsILi128ELi4ELi8ELb1ELb1ELb1EEEv13SSMParamsBase.num_vgpr, 42
	.set _Z26selective_scan_vllm_kernelI18SSMFwdKernelTraitsILi128ELi4ELi8ELb1ELb1ELb1EEEv13SSMParamsBase.num_agpr, 0
	.set _Z26selective_scan_vllm_kernelI18SSMFwdKernelTraitsILi128ELi4ELi8ELb1ELb1ELb1EEEv13SSMParamsBase.numbered_sgpr, 59
	.set _Z26selective_scan_vllm_kernelI18SSMFwdKernelTraitsILi128ELi4ELi8ELb1ELb1ELb1EEEv13SSMParamsBase.num_named_barrier, 0
	.set _Z26selective_scan_vllm_kernelI18SSMFwdKernelTraitsILi128ELi4ELi8ELb1ELb1ELb1EEEv13SSMParamsBase.private_seg_size, 48
	.set _Z26selective_scan_vllm_kernelI18SSMFwdKernelTraitsILi128ELi4ELi8ELb1ELb1ELb1EEEv13SSMParamsBase.uses_vcc, 1
	.set _Z26selective_scan_vllm_kernelI18SSMFwdKernelTraitsILi128ELi4ELi8ELb1ELb1ELb1EEEv13SSMParamsBase.uses_flat_scratch, 0
	.set _Z26selective_scan_vllm_kernelI18SSMFwdKernelTraitsILi128ELi4ELi8ELb1ELb1ELb1EEEv13SSMParamsBase.has_dyn_sized_stack, 0
	.set _Z26selective_scan_vllm_kernelI18SSMFwdKernelTraitsILi128ELi4ELi8ELb1ELb1ELb1EEEv13SSMParamsBase.has_recursion, 0
	.set _Z26selective_scan_vllm_kernelI18SSMFwdKernelTraitsILi128ELi4ELi8ELb1ELb1ELb1EEEv13SSMParamsBase.has_indirect_call, 0
	.section	.AMDGPU.csdata,"",@progbits
; Kernel info:
; codeLenInByte = 3228
; TotalNumSgprs: 61
; NumVgprs: 42
; ScratchSize: 48
; MemoryBound: 0
; FloatMode: 240
; IeeeMode: 1
; LDSByteSize: 0 bytes/workgroup (compile time only)
; SGPRBlocks: 0
; VGPRBlocks: 5
; NumSGPRsForWavesPerEU: 61
; NumVGPRsForWavesPerEU: 42
; Occupancy: 16
; WaveLimiterHint : 0
; COMPUTE_PGM_RSRC2:SCRATCH_EN: 1
; COMPUTE_PGM_RSRC2:USER_SGPR: 6
; COMPUTE_PGM_RSRC2:TRAP_HANDLER: 0
; COMPUTE_PGM_RSRC2:TGID_X_EN: 1
; COMPUTE_PGM_RSRC2:TGID_Y_EN: 1
; COMPUTE_PGM_RSRC2:TGID_Z_EN: 0
; COMPUTE_PGM_RSRC2:TIDIG_COMP_CNT: 0
	.section	.text._Z26selective_scan_vllm_kernelI18SSMFwdKernelTraitsILi128ELi4ELi8ELb1ELb1ELb0EEEv13SSMParamsBase,"axG",@progbits,_Z26selective_scan_vllm_kernelI18SSMFwdKernelTraitsILi128ELi4ELi8ELb1ELb1ELb0EEEv13SSMParamsBase,comdat
	.protected	_Z26selective_scan_vllm_kernelI18SSMFwdKernelTraitsILi128ELi4ELi8ELb1ELb1ELb0EEEv13SSMParamsBase ; -- Begin function _Z26selective_scan_vllm_kernelI18SSMFwdKernelTraitsILi128ELi4ELi8ELb1ELb1ELb0EEEv13SSMParamsBase
	.globl	_Z26selective_scan_vllm_kernelI18SSMFwdKernelTraitsILi128ELi4ELi8ELb1ELb1ELb0EEEv13SSMParamsBase
	.p2align	8
	.type	_Z26selective_scan_vllm_kernelI18SSMFwdKernelTraitsILi128ELi4ELi8ELb1ELb1ELb0EEEv13SSMParamsBase,@function
_Z26selective_scan_vllm_kernelI18SSMFwdKernelTraitsILi128ELi4ELi8ELb1ELb1ELb0EEEv13SSMParamsBase: ; @_Z26selective_scan_vllm_kernelI18SSMFwdKernelTraitsILi128ELi4ELi8ELb1ELb1ELb0EEEv13SSMParamsBase
; %bb.0:
	s_load_dwordx2 s[12:13], s[4:5], 0x4
	s_add_u32 s0, s0, s8
	s_addc_u32 s1, s1, 0
	s_clause 0x2
	s_load_dwordx16 s[36:51], s[4:5], 0x18
	s_load_dwordx2 s[16:17], s[4:5], 0x88
	s_load_dwordx4 s[28:31], s[4:5], 0x78
	v_cmp_ne_u32_e64 s24, 0, v0
	s_abs_i32 s15, s6
	s_ashr_i32 s14, s6, 31
	s_waitcnt lgkmcnt(0)
	s_abs_i32 s9, s12
	s_ashr_i32 s18, s12, 31
	v_cvt_f32_u32_e32 v1, s9
	s_sub_i32 s8, 0, s9
	v_rcp_iflag_f32_e32 v1, v1
	v_mul_f32_e32 v1, 0x4f7ffffe, v1
	v_cvt_u32_f32_e32 v1, v1
	v_readfirstlane_b32 s10, v1
	s_mul_i32 s8, s8, s10
	s_mul_hi_u32 s11, s10, s8
	v_cmp_eq_u32_e64 s8, 0, v0
	s_add_i32 s10, s10, s11
	s_mul_hi_u32 s11, s15, s10
	s_lshl_b32 s10, s7, 9
	s_and_saveexec_b32 s19, s8
	s_cbranch_execz .LBB2_2
; %bb.1:
	s_add_i32 s20, s10, 0x200
	s_not_b32 s21, s10
	s_min_i32 s20, s20, s13
	v_mov_b32_e32 v3, 0
	s_add_i32 s20, s20, s21
	s_ashr_i32 s21, s20, 31
	s_lshr_b32 s21, s21, 30
	s_add_i32 s21, s20, s21
	s_and_b32 s22, s21, -4
	s_ashr_i32 s21, s21, 2
	s_sub_i32 s20, s20, s22
	v_mov_b32_e32 v1, s21
	v_mov_b32_e32 v2, s20
	ds_write_b64 v3, v[1:2] offset:36960
.LBB2_2:
	s_or_b32 exec_lo, exec_lo, s19
	s_mul_i32 s19, s11, s9
	s_xor_b32 s14, s14, s18
	s_sub_i32 s15, s15, s19
	s_add_i32 s18, s11, 1
	s_sub_i32 s19, s15, s9
	s_cmp_ge_u32 s15, s9
	v_mov_b32_e32 v7, 0
	s_cselect_b32 s11, s18, s11
	s_cselect_b32 s15, s19, s15
	s_add_i32 s18, s11, 1
	s_cmp_ge_u32 s15, s9
	s_waitcnt lgkmcnt(0)
	s_cselect_b32 s9, s18, s11
	s_barrier
	s_xor_b32 s9, s9, s14
	buffer_gl0_inv
	s_sub_i32 s22, s9, s14
	ds_read_b64 v[3:4], v7 offset:36960
	s_mul_i32 s14, s22, s28
	s_mul_i32 s9, s22, s12
	s_ashr_i32 s15, s14, 31
	s_sub_i32 s18, s6, s9
	s_lshl_b64 s[26:27], s[14:15], 2
	v_lshlrev_b32_e32 v5, 2, v0
	s_mul_i32 s14, s18, s29
	s_add_u32 s9, s36, s26
	s_addc_u32 s11, s37, s27
	s_ashr_i32 s15, s14, 31
	v_add_nc_u32_e32 v1, s10, v5
	s_lshl_b64 s[28:29], s[14:15], 2
	v_mov_b32_e32 v6, 0
	s_add_u32 s25, s9, s28
	s_addc_u32 s33, s11, s29
	s_ashr_i32 s19, s18, 31
	v_cmp_le_i32_e64 s10, s13, v1
	s_lshl_b64 s[20:21], s[18:19], 2
	v_cmp_gt_i32_e64 s9, s13, v1
	v_ashrrev_i32_e32 v2, 31, v1
	s_add_u32 s14, s48, s20
	s_addc_u32 s15, s49, s21
	s_and_saveexec_b32 s11, s9
	s_cbranch_execz .LBB2_4
; %bb.3:
	v_lshlrev_b64 v[8:9], 2, v[1:2]
	v_add_co_u32 v8, vcc_lo, s25, v8
	v_add_co_ci_u32_e64 v9, null, s33, v9, vcc_lo
	global_load_dword v6, v[8:9], off
.LBB2_4:
	s_or_b32 exec_lo, exec_lo, s11
	s_load_dword s15, s[14:15], 0x0
	s_add_u32 s11, s38, s26
	s_addc_u32 s12, s39, s27
	s_add_u32 s19, s11, s28
	s_addc_u32 s23, s12, s29
	s_and_saveexec_b32 s11, s9
	s_cbranch_execz .LBB2_6
; %bb.5:
	v_lshlrev_b64 v[7:8], 2, v[1:2]
	v_add_co_u32 v7, vcc_lo, s19, v7
	v_add_co_ci_u32_e64 v8, null, s23, v8, vcc_lo
	global_load_dword v7, v[7:8], off
.LBB2_6:
	s_or_b32 exec_lo, exec_lo, s11
	s_waitcnt vmcnt(0) lgkmcnt(0)
	v_add_f32_e32 v8, s15, v7
	v_mul_f32_e32 v7, 0x3fb8aa3b, v8
	v_exp_f32_e32 v7, v7
	v_add_f32_e32 v7, 1.0, v7
	v_cmp_gt_f32_e32 vcc_lo, 0x800000, v7
	v_cndmask_b32_e64 v9, 0, 32, vcc_lo
	v_cndmask_b32_e64 v10, 0, 0x41b17218, vcc_lo
	v_ldexp_f32 v7, v7, v9
	v_log_f32_e32 v7, v7
	v_mul_f32_e32 v9, 0x3f317217, v7
	v_cmp_gt_f32_e64 vcc_lo, 0x7f800000, |v7|
	v_fma_f32 v9, 0x3f317217, v7, -v9
	v_fmamk_f32 v9, v7, 0x3377d1cf, v9
	v_fmac_f32_e32 v9, 0x3f317217, v7
	v_cndmask_b32_e32 v7, v7, v9, vcc_lo
	v_lshl_add_u32 v9, v5, 2, 0
	v_cmp_lt_f32_e32 vcc_lo, 0x41a00000, v8
	v_sub_f32_e32 v5, v7, v10
	v_or_b32_e32 v10, 1, v1
	v_mov_b32_e32 v7, 0
	v_add_nc_u32_e32 v11, 32, v9
	v_cndmask_b32_e32 v8, v5, v8, vcc_lo
	v_cmp_gt_i32_e64 s11, s13, v10
	v_mov_b32_e32 v5, 0
	ds_write2st64_b32 v11, v6, v8 offset1:8
	s_and_saveexec_b32 s12, s11
	s_cbranch_execz .LBB2_8
; %bb.7:
	v_lshlrev_b64 v[5:6], 2, v[1:2]
	v_add_co_u32 v5, vcc_lo, s25, v5
	v_add_co_ci_u32_e64 v6, null, s33, v6, vcc_lo
	global_load_dword v5, v[5:6], off offset:4
.LBB2_8:
	s_or_b32 exec_lo, exec_lo, s12
	s_and_saveexec_b32 s12, s11
	s_cbranch_execz .LBB2_10
; %bb.9:
	v_lshlrev_b64 v[6:7], 2, v[1:2]
	v_add_co_u32 v6, vcc_lo, s19, v6
	v_add_co_ci_u32_e64 v7, null, s23, v7, vcc_lo
	global_load_dword v7, v[6:7], off offset:4
.LBB2_10:
	s_or_b32 exec_lo, exec_lo, s12
	s_waitcnt vmcnt(0)
	v_add_f32_e32 v6, s15, v7
	v_add_nc_u32_e32 v11, 36, v9
	v_mul_f32_e32 v7, 0x3fb8aa3b, v6
	v_exp_f32_e32 v7, v7
	v_add_f32_e32 v7, 1.0, v7
	v_cmp_gt_f32_e32 vcc_lo, 0x800000, v7
	v_cndmask_b32_e64 v8, 0, 32, vcc_lo
	v_cndmask_b32_e64 v10, 0, 0x41b17218, vcc_lo
	v_ldexp_f32 v7, v7, v8
	v_log_f32_e32 v7, v7
	v_mul_f32_e32 v8, 0x3f317217, v7
	v_cmp_gt_f32_e64 vcc_lo, 0x7f800000, |v7|
	v_fma_f32 v8, 0x3f317217, v7, -v8
	v_fmamk_f32 v8, v7, 0x3377d1cf, v8
	v_fmac_f32_e32 v8, 0x3f317217, v7
	v_cndmask_b32_e32 v7, v7, v8, vcc_lo
	v_cmp_lt_f32_e32 vcc_lo, 0x41a00000, v6
	v_sub_f32_e32 v8, v7, v10
	v_or_b32_e32 v10, 2, v1
	v_mov_b32_e32 v7, 0
	v_cndmask_b32_e32 v8, v8, v6, vcc_lo
	v_cmp_gt_i32_e64 s12, s13, v10
	v_mov_b32_e32 v6, 0
	ds_write2st64_b32 v11, v5, v8 offset1:8
	s_and_saveexec_b32 s14, s12
	s_cbranch_execz .LBB2_12
; %bb.11:
	v_lshlrev_b64 v[5:6], 2, v[1:2]
	v_add_co_u32 v5, vcc_lo, s25, v5
	v_add_co_ci_u32_e64 v6, null, s33, v6, vcc_lo
	global_load_dword v6, v[5:6], off offset:8
.LBB2_12:
	s_or_b32 exec_lo, exec_lo, s14
	s_and_saveexec_b32 s14, s12
	s_cbranch_execz .LBB2_14
; %bb.13:
	v_lshlrev_b64 v[7:8], 2, v[1:2]
	v_add_co_u32 v7, vcc_lo, s19, v7
	v_add_co_ci_u32_e64 v8, null, s23, v8, vcc_lo
	global_load_dword v7, v[7:8], off offset:8
.LBB2_14:
	s_or_b32 exec_lo, exec_lo, s14
	s_waitcnt vmcnt(0)
	v_add_f32_e32 v7, s15, v7
	v_add_nc_u32_e32 v11, 40, v9
	v_mul_f32_e32 v5, 0x3fb8aa3b, v7
	v_exp_f32_e32 v5, v5
	v_add_f32_e32 v5, 1.0, v5
	v_cmp_gt_f32_e32 vcc_lo, 0x800000, v5
	v_cndmask_b32_e64 v8, 0, 32, vcc_lo
	v_cndmask_b32_e64 v10, 0, 0x41b17218, vcc_lo
	v_ldexp_f32 v5, v5, v8
	v_log_f32_e32 v5, v5
	v_mul_f32_e32 v8, 0x3f317217, v5
	v_cmp_gt_f32_e64 vcc_lo, 0x7f800000, |v5|
	v_fma_f32 v8, 0x3f317217, v5, -v8
	v_fmamk_f32 v8, v5, 0x3377d1cf, v8
	v_fmac_f32_e32 v8, 0x3f317217, v5
	v_cndmask_b32_e32 v5, v5, v8, vcc_lo
	v_cmp_lt_f32_e32 vcc_lo, 0x41a00000, v7
	v_sub_f32_e32 v8, v5, v10
	v_or_b32_e32 v10, 3, v1
	v_mov_b32_e32 v5, 0
	v_cndmask_b32_e32 v7, v8, v7, vcc_lo
	v_cmp_le_i32_e32 vcc_lo, s13, v10
	v_cmp_gt_i32_e64 s13, s13, v10
	ds_write2st64_b32 v11, v6, v7 offset1:8
	s_and_saveexec_b32 s34, s13
	s_cbranch_execz .LBB2_16
; %bb.15:
	v_lshlrev_b64 v[5:6], 2, v[1:2]
	v_add_co_u32 v5, s14, s25, v5
	v_add_co_ci_u32_e64 v6, null, s33, v6, s14
	global_load_dword v5, v[5:6], off offset:12
.LBB2_16:
	s_or_b32 exec_lo, exec_lo, s34
	s_and_saveexec_b32 s14, vcc_lo
	s_xor_b32 s14, exec_lo, s14
	s_or_saveexec_b32 s14, s14
	s_clause 0x1
	s_load_dword s25, s[4:5], 0x10
	s_load_dwordx8 s[52:59], s[4:5], 0x58
	v_mov_b32_e32 v10, 0
	v_mov_b32_e32 v6, 0
	s_xor_b32 exec_lo, exec_lo, s14
	s_cbranch_execz .LBB2_18
; %bb.17:
	v_lshlrev_b64 v[6:7], 2, v[1:2]
	v_add_co_u32 v6, vcc_lo, s19, v6
	v_add_co_ci_u32_e64 v7, null, s23, v7, vcc_lo
	global_load_dword v6, v[6:7], off offset:12
.LBB2_18:
	s_or_b32 exec_lo, exec_lo, s14
	s_waitcnt vmcnt(0)
	v_add_f32_e32 v6, s15, v6
	v_cmp_eq_u32_e64 s14, v0, v3
	v_lshlrev_b32_e32 v17, 3, v4
	s_add_u32 s20, s46, s20
	s_addc_u32 s21, s47, s21
	v_mul_f32_e32 v7, 0x3fb8aa3b, v6
	v_mbcnt_lo_u32_b32 v12, -1, 0
	s_mul_i32 s15, s18, s17
	s_lshl_b32 s18, s18, 3
	s_mul_i32 s30, s22, s30
	v_exp_f32_e32 v7, v7
	s_mul_i32 s22, s22, s16
	s_cmp_lg_u32 s7, 0
	s_waitcnt lgkmcnt(0)
	s_mul_i32 s16, s6, s25
	v_or_b32_e32 v13, 31, v0
	v_lshrrev_b32_e32 v15, 2, v0
	s_cselect_b32 s46, -1, 0
	s_lshl_b32 s48, s16, 3
	v_lshlrev_b32_e32 v16, 3, v0
	s_add_i32 s6, s15, s22
	v_add_f32_e32 v7, 1.0, v7
	v_cmp_eq_u32_e64 s15, v0, v13
	v_and_b32_e32 v13, 24, v15
	s_ashr_i32 s19, s18, 31
	v_sub_nc_u32_e32 v20, 0, v16
	v_cmp_gt_f32_e32 vcc_lo, 0x800000, v7
	v_and_b32_e32 v15, 3, v12
	v_mov_b32_e32 v16, v17
	s_lshl_b64 s[34:35], s[18:19], 2
	v_add_nc_u32_e32 v17, 0, v13
	v_cndmask_b32_e64 v8, 0, 32, vcc_lo
	v_cndmask_b32_e64 v3, 0, 0x41b17218, vcc_lo
	v_cmp_gt_u32_e64 s4, 4, v0
	v_cmp_lt_u32_e64 s5, 31, v0
	v_lshl_add_u32 v14, v0, 4, 0x1020
	v_ldexp_f32 v7, v7, v8
	v_add_nc_u32_e32 v8, 44, v9
	v_cmp_ne_u32_e64 s22, 0, v15
	v_cmp_lt_u32_e64 s23, 1, v15
	v_add_nc_u32_e32 v19, -8, v17
	v_log_f32_e32 v7, v7
	v_add_nc_u32_e32 v20, v9, v20
	s_ashr_i32 s47, s7, 31
	s_add_u32 s34, s40, s34
	s_mov_b32 s33, 0
	s_addc_u32 s35, s41, s35
	v_mul_f32_e32 v11, 0x3f317217, v7
	v_cmp_gt_f32_e64 vcc_lo, 0x7f800000, |v7|
	v_fma_f32 v11, 0x3f317217, v7, -v11
	v_fmamk_f32 v11, v7, 0x3377d1cf, v11
	v_fmac_f32_e32 v11, 0x3f317217, v7
	v_cndmask_b32_e32 v4, v7, v11, vcc_lo
	v_cmp_lt_f32_e32 vcc_lo, 0x41a00000, v6
	v_and_b32_e32 v7, 15, v12
	v_and_b32_e32 v11, 16, v12
	v_sub_f32_e32 v3, v4, v3
	v_cmp_ne_u32_e64 s17, 0, v7
	v_cmp_lt_u32_e64 s18, 1, v7
	v_cmp_lt_u32_e64 s19, 3, v7
	v_cndmask_b32_e32 v3, v3, v6, vcc_lo
	ds_write2st64_b32 v8, v5, v3 offset1:8
	s_waitcnt lgkmcnt(0)
	s_barrier
	buffer_gl0_inv
	s_load_dword s36, s[20:21], 0x0
	ds_read2_b32 v[3:4], v9 offset0:8 offset1:9
	ds_read2_b32 v[5:6], v9 offset0:10 offset1:11
	v_sub_co_u32 v8, s16, v12, 1
	v_cmp_lt_u32_e64 s20, 7, v7
	v_cmp_ne_u32_e64 s21, 0, v11
	v_cmp_gt_i32_e32 vcc_lo, 0, v8
	v_cndmask_b32_e32 v7, v8, v12, vcc_lo
	v_lshlrev_b32_e32 v18, 2, v7
	s_waitcnt lgkmcnt(0)
	v_mul_f32_e32 v15, s36, v3
	v_mul_f32_e32 v13, s36, v4
	;; [unrolled: 1-line block ×4, first 2 shown]
	s_mov_b32 s36, s6
	s_branch .LBB2_20
.LBB2_19:                               ;   in Loop: Header=BB2_20 Depth=1
	s_or_b32 exec_lo, exec_lo, s38
	v_fmac_f32_e32 v21, v4, v23
	v_fmac_f32_e32 v24, v4, v22
	;; [unrolled: 1-line block ×4, first 2 shown]
	v_add_nc_u32_e32 v14, 0x800, v14
	s_waitcnt lgkmcnt(1)
	v_fmac_f32_e32 v15, v7, v21
	v_fmac_f32_e32 v13, v8, v24
	s_waitcnt lgkmcnt(0)
	v_fmac_f32_e32 v12, v5, v26
	v_fmac_f32_e32 v11, v6, v27
	s_add_i32 s33, s33, 4
	s_add_i32 s30, s30, s31
	;; [unrolled: 1-line block ×4, first 2 shown]
	s_add_u32 s34, s34, 4
	s_addc_u32 s35, s35, 0
	s_cmp_eq_u32 s33, 32
	s_waitcnt_vscnt null, 0x0
	s_barrier
	buffer_gl0_inv
	s_cbranch_scc1 .LBB2_64
.LBB2_20:                               ; =>This Inner Loop Header: Depth=1
	s_and_saveexec_b32 s40, s8
	s_cbranch_execz .LBB2_25
; %bb.21:                               ;   in Loop: Header=BB2_20 Depth=1
	s_and_b32 vcc_lo, exec_lo, s46
	s_cbranch_vccz .LBB2_63
; %bb.22:                               ;   in Loop: Header=BB2_20 Depth=1
	s_ashr_i32 s37, s48, 31
	s_add_u32 s38, s7, s48
	s_addc_u32 s39, s47, s37
	s_lshl_b64 s[38:39], s[38:39], 2
	s_add_u32 s60, s56, s38
	s_addc_u32 s61, s57, s39
	s_add_u32 s37, s58, s38
	global_load_dword v3, v10, s[60:61] offset:-4
	s_addc_u32 s39, s59, s39
	s_add_u32 s38, s37, -4
	s_addc_u32 s39, s39, -1
	s_cbranch_execnz .LBB2_24
.LBB2_23:                               ;   in Loop: Header=BB2_20 Depth=1
	s_ashr_i32 s37, s36, 31
	s_waitcnt vmcnt(0)
	v_mov_b32_e32 v3, 1.0
	s_lshl_b64 s[38:39], s[36:37], 2
	s_add_u32 s38, s52, s38
	s_addc_u32 s39, s53, s39
.LBB2_24:                               ;   in Loop: Header=BB2_20 Depth=1
	global_load_dword v4, v10, s[38:39]
	s_add_i32 s37, s33, 0
	v_add_nc_u32_e64 v5, 0x9000, s37
	s_waitcnt vmcnt(0)
	ds_write2_b32 v5, v3, v4 offset0:8 offset1:16
.LBB2_25:                               ;   in Loop: Header=BB2_20 Depth=1
	s_or_b32 exec_lo, exec_lo, s40
	v_add_nc_u32_e32 v7, 0, v14
	s_and_saveexec_b32 s37, s10
	s_xor_b32 s37, exec_lo, s37
; %bb.26:                               ;   in Loop: Header=BB2_20 Depth=1
	ds_write_b32 v7, v10
; %bb.27:                               ;   in Loop: Header=BB2_20 Depth=1
	s_or_saveexec_b32 s37, s37
	v_mov_b32_e32 v3, 0
	v_mov_b32_e32 v4, 0
	s_xor_b32 exec_lo, exec_lo, s37
	s_cbranch_execz .LBB2_29
; %bb.28:                               ;   in Loop: Header=BB2_20 Depth=1
	v_add_nc_u32_e32 v4, s30, v1
	v_ashrrev_i32_e32 v5, 31, v4
	v_lshlrev_b64 v[4:5], 2, v[4:5]
	v_add_co_u32 v21, vcc_lo, s42, v4
	v_add_co_ci_u32_e64 v22, null, s43, v5, vcc_lo
	v_add_co_u32 v4, vcc_lo, s44, v4
	v_add_co_ci_u32_e64 v5, null, s45, v5, vcc_lo
	global_load_dword v6, v[21:22], off
	global_load_dword v4, v[4:5], off
	s_waitcnt vmcnt(1)
	ds_write_b32 v7, v6
.LBB2_29:                               ;   in Loop: Header=BB2_20 Depth=1
	s_or_b32 exec_lo, exec_lo, s37
	s_waitcnt vmcnt(0)
	ds_write_b32 v7, v4 offset:16384
	s_and_saveexec_b32 s37, s11
	s_cbranch_execz .LBB2_31
; %bb.30:                               ;   in Loop: Header=BB2_20 Depth=1
	s_ashr_i32 s38, s30, 31
	v_add_co_u32 v3, vcc_lo, s30, v1
	v_add_co_ci_u32_e64 v4, null, s38, v2, vcc_lo
	v_lshlrev_b64 v[3:4], 2, v[3:4]
	v_add_co_u32 v3, vcc_lo, s42, v3
	v_add_co_ci_u32_e64 v4, null, s43, v4, vcc_lo
	global_load_dword v3, v[3:4], off offset:4
.LBB2_31:                               ;   in Loop: Header=BB2_20 Depth=1
	s_or_b32 exec_lo, exec_lo, s37
	v_mov_b32_e32 v4, 0
	v_mov_b32_e32 v5, 0
	s_waitcnt vmcnt(0)
	ds_write_b32 v7, v3 offset:4
	s_and_saveexec_b32 s37, s11
	s_cbranch_execz .LBB2_33
; %bb.32:                               ;   in Loop: Header=BB2_20 Depth=1
	s_ashr_i32 s38, s30, 31
	v_add_co_u32 v5, vcc_lo, s30, v1
	v_add_co_ci_u32_e64 v6, null, s38, v2, vcc_lo
	v_lshlrev_b64 v[5:6], 2, v[5:6]
	v_add_co_u32 v5, vcc_lo, s44, v5
	v_add_co_ci_u32_e64 v6, null, s45, v6, vcc_lo
	global_load_dword v5, v[5:6], off offset:4
.LBB2_33:                               ;   in Loop: Header=BB2_20 Depth=1
	s_or_b32 exec_lo, exec_lo, s37
	s_waitcnt vmcnt(0)
	ds_write_b32 v7, v5 offset:16388
	s_and_saveexec_b32 s37, s12
	s_cbranch_execz .LBB2_35
; %bb.34:                               ;   in Loop: Header=BB2_20 Depth=1
	s_ashr_i32 s38, s30, 31
	v_add_co_u32 v3, vcc_lo, s30, v1
	v_add_co_ci_u32_e64 v4, null, s38, v2, vcc_lo
	v_lshlrev_b64 v[3:4], 2, v[3:4]
	v_add_co_u32 v3, vcc_lo, s42, v3
	v_add_co_ci_u32_e64 v4, null, s43, v4, vcc_lo
	global_load_dword v4, v[3:4], off offset:8
.LBB2_35:                               ;   in Loop: Header=BB2_20 Depth=1
	s_or_b32 exec_lo, exec_lo, s37
	v_mov_b32_e32 v3, 0
	v_mov_b32_e32 v5, 0
	s_waitcnt vmcnt(0)
	ds_write_b32 v7, v4 offset:8
	s_and_saveexec_b32 s37, s12
	s_cbranch_execz .LBB2_37
; %bb.36:                               ;   in Loop: Header=BB2_20 Depth=1
	s_ashr_i32 s38, s30, 31
	v_add_co_u32 v4, vcc_lo, s30, v1
	v_add_co_ci_u32_e64 v5, null, s38, v2, vcc_lo
	v_lshlrev_b64 v[4:5], 2, v[4:5]
	v_add_co_u32 v4, vcc_lo, s44, v4
	v_add_co_ci_u32_e64 v5, null, s45, v5, vcc_lo
	global_load_dword v5, v[4:5], off offset:8
.LBB2_37:                               ;   in Loop: Header=BB2_20 Depth=1
	s_or_b32 exec_lo, exec_lo, s37
	s_waitcnt vmcnt(0)
	ds_write_b32 v7, v5 offset:16392
	s_and_saveexec_b32 s37, s13
	s_cbranch_execz .LBB2_39
; %bb.38:                               ;   in Loop: Header=BB2_20 Depth=1
	s_ashr_i32 s38, s30, 31
	v_add_co_u32 v3, vcc_lo, s30, v1
	v_add_co_ci_u32_e64 v4, null, s38, v2, vcc_lo
	v_lshlrev_b64 v[3:4], 2, v[3:4]
	v_add_co_u32 v3, vcc_lo, s42, v3
	v_add_co_ci_u32_e64 v4, null, s43, v4, vcc_lo
	global_load_dword v3, v[3:4], off offset:12
.LBB2_39:                               ;   in Loop: Header=BB2_20 Depth=1
	s_or_b32 exec_lo, exec_lo, s37
	v_mov_b32_e32 v4, 0
	s_waitcnt vmcnt(0)
	ds_write_b32 v7, v3 offset:12
	s_and_saveexec_b32 s37, s13
	s_cbranch_execz .LBB2_41
; %bb.40:                               ;   in Loop: Header=BB2_20 Depth=1
	s_ashr_i32 s38, s30, 31
	v_add_co_u32 v3, vcc_lo, s30, v1
	v_add_co_ci_u32_e64 v4, null, s38, v2, vcc_lo
	v_lshlrev_b64 v[3:4], 2, v[3:4]
	v_add_co_u32 v3, vcc_lo, s44, v3
	v_add_co_ci_u32_e64 v4, null, s45, v4, vcc_lo
	global_load_dword v4, v[3:4], off offset:12
.LBB2_41:                               ;   in Loop: Header=BB2_20 Depth=1
	s_or_b32 exec_lo, exec_lo, s37
	s_waitcnt vmcnt(0)
	ds_write_b32 v7, v4 offset:16396
	s_waitcnt lgkmcnt(0)
	s_barrier
	buffer_gl0_inv
	global_load_dword v8, v10, s[34:35]
	v_add_nc_u32_e32 v3, 0x820, v9
	v_add_nc_u32_e32 v21, 0x828, v9
	ds_read2_b32 v[3:4], v3 offset1:1
	ds_read2_b32 v[5:6], v7 offset0:2 offset1:3
	ds_read2_b32 v[21:22], v21 offset1:1
	ds_read2_b32 v[23:24], v7 offset1:1
	ds_read2_b32 v[25:26], v9 offset0:8 offset1:9
	ds_read2_b32 v[27:28], v9 offset0:10 offset1:11
	s_add_i32 s37, s33, 0
	v_add_nc_u32_e64 v32, 0x9000, s37
	s_waitcnt lgkmcnt(3)
	v_mul_f32_e32 v5, v21, v5
	v_mul_f32_e32 v6, v22, v6
	s_waitcnt vmcnt(0)
	v_mul_f32_e32 v29, v3, v8
	v_mul_f32_e32 v30, v4, v8
	;; [unrolled: 1-line block ×3, first 2 shown]
	s_waitcnt lgkmcnt(2)
	v_mul_f32_e32 v3, v3, v23
	v_mul_f32_e32 v8, v22, v8
	;; [unrolled: 1-line block ×6, first 2 shown]
	s_waitcnt lgkmcnt(1)
	v_mul_f32_e32 v21, v25, v3
	v_exp_f32_e32 v23, v29
	v_exp_f32_e32 v31, v30
	v_mul_f32_e32 v3, 0x3fb8aa3b, v8
	v_exp_f32_e32 v33, v33
	v_mul_f32_e32 v8, v26, v4
	s_waitcnt lgkmcnt(0)
	v_mul_f32_e32 v29, v27, v5
	v_exp_f32_e32 v30, v3
	ds_read2_b32 v[3:4], v32 offset0:8 offset1:16
	v_mul_f32_e32 v32, v28, v6
	v_mul_f32_e32 v22, v23, v31
	v_fma_f32 v24, v21, v31, v8
	v_mul_f32_e32 v25, v22, v33
	v_fma_f32 v26, v24, v33, v29
	;; [unrolled: 2-line block ×3, first 2 shown]
	v_mov_b32_dpp v5, v28 row_shr:1 row_mask:0xf bank_mask:0xf
	v_mov_b32_dpp v6, v27 row_shr:1 row_mask:0xf bank_mask:0xf
	v_mov_b32_e32 v34, v27
	v_mov_b32_e32 v35, v28
	s_and_saveexec_b32 s38, s17
; %bb.42:                               ;   in Loop: Header=BB2_20 Depth=1
	v_mov_b32_e32 v34, v27
	v_mul_f32_e32 v35, v28, v5
	v_fmac_f32_e32 v34, v28, v6
; %bb.43:                               ;   in Loop: Header=BB2_20 Depth=1
	s_or_b32 exec_lo, exec_lo, s38
	v_mov_b32_dpp v6, v35 row_shr:2 row_mask:0xf bank_mask:0xf
	v_mov_b32_dpp v5, v34 row_shr:2 row_mask:0xf bank_mask:0xf
	s_and_saveexec_b32 s38, s18
; %bb.44:                               ;   in Loop: Header=BB2_20 Depth=1
	v_mul_f32_e32 v6, v35, v6
	v_fmac_f32_e32 v34, v35, v5
	v_mov_b32_e32 v35, v6
; %bb.45:                               ;   in Loop: Header=BB2_20 Depth=1
	s_or_b32 exec_lo, exec_lo, s38
	v_mov_b32_dpp v6, v35 row_shr:4 row_mask:0xf bank_mask:0xf
	v_mov_b32_dpp v5, v34 row_shr:4 row_mask:0xf bank_mask:0xf
	s_and_saveexec_b32 s38, s19
; %bb.46:                               ;   in Loop: Header=BB2_20 Depth=1
	v_mul_f32_e32 v6, v35, v6
	v_fmac_f32_e32 v34, v35, v5
	v_mov_b32_e32 v35, v6
	;; [unrolled: 9-line block ×3, first 2 shown]
; %bb.49:                               ;   in Loop: Header=BB2_20 Depth=1
	s_or_b32 exec_lo, exec_lo, s38
	ds_swizzle_b32 v5, v35 offset:swizzle(BROADCAST,32,15)
	ds_swizzle_b32 v6, v34 offset:swizzle(BROADCAST,32,15)
	s_and_saveexec_b32 s38, s21
	s_cbranch_execz .LBB2_51
; %bb.50:                               ;   in Loop: Header=BB2_20 Depth=1
	s_waitcnt lgkmcnt(0)
	v_fmac_f32_e32 v34, v35, v6
	v_mul_f32_e32 v35, v35, v5
.LBB2_51:                               ;   in Loop: Header=BB2_20 Depth=1
	s_or_b32 exec_lo, exec_lo, s38
	s_and_saveexec_b32 s38, s15
; %bb.52:                               ;   in Loop: Header=BB2_20 Depth=1
	ds_write2_b32 v17, v35, v34 offset1:1
; %bb.53:                               ;   in Loop: Header=BB2_20 Depth=1
	s_or_b32 exec_lo, exec_lo, s38
	s_waitcnt lgkmcnt(0)
	s_barrier
	buffer_gl0_inv
	s_and_saveexec_b32 s38, s4
	s_cbranch_execz .LBB2_57
; %bb.54:                               ;   in Loop: Header=BB2_20 Depth=1
	ds_read2_b32 v[5:6], v20 offset1:1
	s_waitcnt lgkmcnt(0)
	v_mov_b32_dpp v36, v5 row_shr:1 row_mask:0xf bank_mask:0xf
	v_mov_b32_dpp v37, v6 row_shr:1 row_mask:0xf bank_mask:0xf
	s_and_saveexec_b32 s39, s22
; %bb.55:                               ;   in Loop: Header=BB2_20 Depth=1
	v_fma_f32 v6, v5, v37, v6
	v_mul_f32_e32 v5, v5, v36
; %bb.56:                               ;   in Loop: Header=BB2_20 Depth=1
	s_or_b32 exec_lo, exec_lo, s39
	v_mov_b32_dpp v36, v5 row_shr:2 row_mask:0xf bank_mask:0xf
	v_mov_b32_dpp v37, v6 row_shr:2 row_mask:0xf bank_mask:0xf
	v_mul_f32_e32 v36, v5, v36
	v_fma_f32 v37, v5, v37, v6
	v_cndmask_b32_e64 v5, v5, v36, s23
	v_cndmask_b32_e64 v6, v6, v37, s23
	ds_write2_b32 v20, v5, v6 offset1:1
.LBB2_57:                               ;   in Loop: Header=BB2_20 Depth=1
	s_or_b32 exec_lo, exec_lo, s38
	s_waitcnt lgkmcnt(0)
	s_barrier
	buffer_gl0_inv
                                        ; implicit-def: $vgpr6
	s_and_saveexec_b32 s38, s5
	s_cbranch_execz .LBB2_59
; %bb.58:                               ;   in Loop: Header=BB2_20 Depth=1
	ds_read2_b32 v[5:6], v19 offset1:1
	s_waitcnt lgkmcnt(0)
	v_mul_f32_e32 v36, v35, v5
	v_fmac_f32_e32 v34, v35, v6
	v_mov_b32_e32 v35, v36
.LBB2_59:                               ;   in Loop: Header=BB2_20 Depth=1
	s_or_b32 exec_lo, exec_lo, s38
	ds_bpermute_b32 v35, v18, v35
	ds_bpermute_b32 v34, v18, v34
	s_and_saveexec_b32 s38, s24
	s_cbranch_execz .LBB2_61
; %bb.60:                               ;   in Loop: Header=BB2_20 Depth=1
	s_waitcnt lgkmcnt(0)
	v_cndmask_b32_e64 v6, v34, v6, s16
	v_cndmask_b32_e64 v5, v35, v5, s16
	;;#ASMSTART
	;;#ASMEND
	v_fmac_f32_e32 v21, v23, v6
	v_mul_f32_e32 v23, v23, v5
	v_fmac_f32_e32 v8, v21, v31
	v_mul_f32_e32 v22, v23, v31
	;; [unrolled: 2-line block ×3, first 2 shown]
	v_mov_b32_e32 v24, v8
	v_fmac_f32_e32 v32, v29, v30
	v_mul_f32_e32 v28, v25, v30
	v_mov_b32_e32 v26, v29
	v_mov_b32_e32 v27, v32
.LBB2_61:                               ;   in Loop: Header=BB2_20 Depth=1
	s_or_b32 exec_lo, exec_lo, s38
	v_add_nc_u32_e32 v5, 0x4000, v7
	v_add_nc_u32_e32 v6, 0x4008, v7
	buffer_store_dword v23, off, s[0:3], 0
	buffer_store_dword v21, off, s[0:3], 0 offset:4
	buffer_store_dword v22, off, s[0:3], 0 offset:8
	;; [unrolled: 1-line block ×7, first 2 shown]
	s_waitcnt lgkmcnt(0)
	s_waitcnt_vscnt null, 0x0
	s_barrier
	buffer_gl0_inv
	ds_read2_b32 v[7:8], v5 offset1:1
	ds_read2_b32 v[5:6], v6 offset1:1
	s_and_saveexec_b32 s38, s14
	s_cbranch_execz .LBB2_19
; %bb.62:                               ;   in Loop: Header=BB2_20 Depth=1
	s_clause 0x1
	buffer_load_dword v29, v16, s[0:3], 0 offen
	buffer_load_dword v30, v16, s[0:3], 0 offen offset:4
	s_add_i32 s40, s7, s48
	v_add_nc_u32_e64 v31, 0x9000, s37
	s_ashr_i32 s41, s40, 31
	s_lshl_b64 s[40:41], s[40:41], 2
	s_add_u32 s60, s56, s40
	s_addc_u32 s61, s57, s41
	s_add_u32 s40, s58, s40
	s_addc_u32 s41, s59, s41
	s_waitcnt vmcnt(1)
	v_mul_f32_e32 v3, v3, v29
	s_waitcnt vmcnt(0)
	v_fmac_f32_e32 v30, v4, v29
	global_store_dword v10, v3, s[60:61]
	global_store_dword v10, v30, s[40:41]
	ds_write2_b32 v31, v3, v30 offset0:8 offset1:16
	s_branch .LBB2_19
.LBB2_63:                               ;   in Loop: Header=BB2_20 Depth=1
                                        ; implicit-def: $sgpr38_sgpr39
                                        ; implicit-def: $vgpr3
	s_branch .LBB2_23
.LBB2_64:
	s_add_u32 s4, s50, s26
	s_addc_u32 s5, s51, s27
	s_add_u32 s8, s4, s28
	s_addc_u32 s10, s5, s29
	v_lshlrev_b64 v[1:2], 2, v[1:2]
	s_add_u32 s4, s54, s26
	s_addc_u32 s5, s55, s27
	s_add_u32 s4, s4, s28
	s_addc_u32 s5, s5, s29
	s_and_saveexec_b32 s14, s9
	s_cbranch_execnz .LBB2_72
; %bb.65:
	s_or_b32 exec_lo, exec_lo, s14
	s_and_saveexec_b32 s9, s11
	s_cbranch_execnz .LBB2_73
.LBB2_66:
	s_or_b32 exec_lo, exec_lo, s9
	s_and_saveexec_b32 s9, s12
	s_cbranch_execnz .LBB2_74
.LBB2_67:
	s_or_b32 exec_lo, exec_lo, s9
	s_and_saveexec_b32 s9, s13
	s_cbranch_execz .LBB2_69
.LBB2_68:
	v_add_co_u32 v3, vcc_lo, s8, v1
	v_add_co_ci_u32_e64 v4, null, s10, v2, vcc_lo
	global_load_dword v3, v[3:4], off offset:12
	s_waitcnt vmcnt(0)
	v_mul_f32_e32 v4, 0xbfb8aa3b, v3
	v_exp_f32_e32 v4, v4
	v_add_f32_e32 v4, 1.0, v4
	v_div_scale_f32 v5, null, v4, v4, v3
	v_div_scale_f32 v8, vcc_lo, v3, v4, v3
	v_rcp_f32_e32 v6, v5
	v_fma_f32 v7, -v5, v6, 1.0
	v_fmac_f32_e32 v6, v7, v6
	v_mul_f32_e32 v7, v8, v6
	v_fma_f32 v9, -v5, v7, v8
	v_fmac_f32_e32 v7, v9, v6
	v_fma_f32 v5, -v5, v7, v8
	v_div_fmas_f32 v5, v5, v6, v7
	v_add_co_u32 v1, vcc_lo, s4, v1
	v_add_co_ci_u32_e64 v2, null, s5, v2, vcc_lo
	v_div_fixup_f32 v3, v5, v4, v3
	v_mul_f32_e32 v3, v11, v3
	global_store_dword v[1:2], v3, off offset:12
.LBB2_69:
	s_or_b32 exec_lo, exec_lo, s9
	s_add_i32 s25, s25, -1
	v_cmp_gt_u32_e32 vcc_lo, 8, v0
	s_cmp_eq_u32 s7, s25
	s_cselect_b32 s4, -1, 0
	s_and_b32 s4, s4, vcc_lo
	s_and_saveexec_b32 s5, s4
	s_cbranch_execz .LBB2_71
; %bb.70:
	v_lshl_add_u32 v1, v0, 2, 0
	v_add_nc_u32_e32 v0, s6, v0
	ds_read_b32 v2, v1 offset:36928
	v_ashrrev_i32_e32 v1, 31, v0
	v_lshlrev_b64 v[0:1], 2, v[0:1]
	v_add_co_u32 v0, vcc_lo, s52, v0
	v_add_co_ci_u32_e64 v1, null, s53, v1, vcc_lo
	s_waitcnt lgkmcnt(0)
	global_store_dword v[0:1], v2, off
.LBB2_71:
	s_endpgm
.LBB2_72:
	v_add_co_u32 v3, vcc_lo, s8, v1
	v_add_co_ci_u32_e64 v4, null, s10, v2, vcc_lo
	global_load_dword v3, v[3:4], off
	s_waitcnt vmcnt(0)
	v_mul_f32_e32 v4, 0xbfb8aa3b, v3
	v_exp_f32_e32 v4, v4
	v_add_f32_e32 v4, 1.0, v4
	v_div_scale_f32 v5, null, v4, v4, v3
	v_div_scale_f32 v8, vcc_lo, v3, v4, v3
	v_rcp_f32_e32 v6, v5
	v_fma_f32 v7, -v5, v6, 1.0
	v_fmac_f32_e32 v6, v7, v6
	v_mul_f32_e32 v7, v8, v6
	v_fma_f32 v9, -v5, v7, v8
	v_fmac_f32_e32 v7, v9, v6
	v_fma_f32 v5, -v5, v7, v8
	v_div_fmas_f32 v5, v5, v6, v7
	v_div_fixup_f32 v3, v5, v4, v3
	v_mul_f32_e32 v5, v15, v3
	v_add_co_u32 v3, vcc_lo, s4, v1
	v_add_co_ci_u32_e64 v4, null, s5, v2, vcc_lo
	global_store_dword v[3:4], v5, off
	s_or_b32 exec_lo, exec_lo, s14
	s_and_saveexec_b32 s9, s11
	s_cbranch_execz .LBB2_66
.LBB2_73:
	v_add_co_u32 v3, vcc_lo, s8, v1
	v_add_co_ci_u32_e64 v4, null, s10, v2, vcc_lo
	global_load_dword v3, v[3:4], off offset:4
	s_waitcnt vmcnt(0)
	v_mul_f32_e32 v4, 0xbfb8aa3b, v3
	v_exp_f32_e32 v4, v4
	v_add_f32_e32 v4, 1.0, v4
	v_div_scale_f32 v5, null, v4, v4, v3
	v_div_scale_f32 v8, vcc_lo, v3, v4, v3
	v_rcp_f32_e32 v6, v5
	v_fma_f32 v7, -v5, v6, 1.0
	v_fmac_f32_e32 v6, v7, v6
	v_mul_f32_e32 v7, v8, v6
	v_fma_f32 v9, -v5, v7, v8
	v_fmac_f32_e32 v7, v9, v6
	v_fma_f32 v5, -v5, v7, v8
	v_div_fmas_f32 v5, v5, v6, v7
	v_div_fixup_f32 v3, v5, v4, v3
	v_mul_f32_e32 v5, v13, v3
	v_add_co_u32 v3, vcc_lo, s4, v1
	v_add_co_ci_u32_e64 v4, null, s5, v2, vcc_lo
	global_store_dword v[3:4], v5, off offset:4
	s_or_b32 exec_lo, exec_lo, s9
	s_and_saveexec_b32 s9, s12
	s_cbranch_execz .LBB2_67
.LBB2_74:
	v_add_co_u32 v3, vcc_lo, s8, v1
	v_add_co_ci_u32_e64 v4, null, s10, v2, vcc_lo
	global_load_dword v3, v[3:4], off offset:8
	s_waitcnt vmcnt(0)
	v_mul_f32_e32 v4, 0xbfb8aa3b, v3
	v_exp_f32_e32 v4, v4
	v_add_f32_e32 v4, 1.0, v4
	v_div_scale_f32 v5, null, v4, v4, v3
	v_div_scale_f32 v8, vcc_lo, v3, v4, v3
	v_rcp_f32_e32 v6, v5
	v_fma_f32 v7, -v5, v6, 1.0
	v_fmac_f32_e32 v6, v7, v6
	v_mul_f32_e32 v7, v8, v6
	v_fma_f32 v9, -v5, v7, v8
	v_fmac_f32_e32 v7, v9, v6
	v_fma_f32 v5, -v5, v7, v8
	v_div_fmas_f32 v5, v5, v6, v7
	v_div_fixup_f32 v3, v5, v4, v3
	v_mul_f32_e32 v5, v12, v3
	v_add_co_u32 v3, vcc_lo, s4, v1
	v_add_co_ci_u32_e64 v4, null, s5, v2, vcc_lo
	global_store_dword v[3:4], v5, off offset:8
	s_or_b32 exec_lo, exec_lo, s9
	s_and_saveexec_b32 s9, s13
	s_cbranch_execnz .LBB2_68
	s_branch .LBB2_69
	.section	.rodata,"a",@progbits
	.p2align	6, 0x0
	.amdhsa_kernel _Z26selective_scan_vllm_kernelI18SSMFwdKernelTraitsILi128ELi4ELi8ELb1ELb1ELb0EEEv13SSMParamsBase
		.amdhsa_group_segment_fixed_size 0
		.amdhsa_private_segment_fixed_size 48
		.amdhsa_kernarg_size 144
		.amdhsa_user_sgpr_count 6
		.amdhsa_user_sgpr_private_segment_buffer 1
		.amdhsa_user_sgpr_dispatch_ptr 0
		.amdhsa_user_sgpr_queue_ptr 0
		.amdhsa_user_sgpr_kernarg_segment_ptr 1
		.amdhsa_user_sgpr_dispatch_id 0
		.amdhsa_user_sgpr_flat_scratch_init 0
		.amdhsa_user_sgpr_private_segment_size 0
		.amdhsa_wavefront_size32 1
		.amdhsa_uses_dynamic_stack 0
		.amdhsa_system_sgpr_private_segment_wavefront_offset 1
		.amdhsa_system_sgpr_workgroup_id_x 1
		.amdhsa_system_sgpr_workgroup_id_y 1
		.amdhsa_system_sgpr_workgroup_id_z 0
		.amdhsa_system_sgpr_workgroup_info 0
		.amdhsa_system_vgpr_workitem_id 0
		.amdhsa_next_free_vgpr 38
		.amdhsa_next_free_sgpr 62
		.amdhsa_reserve_vcc 1
		.amdhsa_reserve_flat_scratch 0
		.amdhsa_float_round_mode_32 0
		.amdhsa_float_round_mode_16_64 0
		.amdhsa_float_denorm_mode_32 3
		.amdhsa_float_denorm_mode_16_64 3
		.amdhsa_dx10_clamp 1
		.amdhsa_ieee_mode 1
		.amdhsa_fp16_overflow 0
		.amdhsa_workgroup_processor_mode 1
		.amdhsa_memory_ordered 1
		.amdhsa_forward_progress 1
		.amdhsa_shared_vgpr_count 0
		.amdhsa_exception_fp_ieee_invalid_op 0
		.amdhsa_exception_fp_denorm_src 0
		.amdhsa_exception_fp_ieee_div_zero 0
		.amdhsa_exception_fp_ieee_overflow 0
		.amdhsa_exception_fp_ieee_underflow 0
		.amdhsa_exception_fp_ieee_inexact 0
		.amdhsa_exception_int_div_zero 0
	.end_amdhsa_kernel
	.section	.text._Z26selective_scan_vllm_kernelI18SSMFwdKernelTraitsILi128ELi4ELi8ELb1ELb1ELb0EEEv13SSMParamsBase,"axG",@progbits,_Z26selective_scan_vllm_kernelI18SSMFwdKernelTraitsILi128ELi4ELi8ELb1ELb1ELb0EEEv13SSMParamsBase,comdat
.Lfunc_end2:
	.size	_Z26selective_scan_vllm_kernelI18SSMFwdKernelTraitsILi128ELi4ELi8ELb1ELb1ELb0EEEv13SSMParamsBase, .Lfunc_end2-_Z26selective_scan_vllm_kernelI18SSMFwdKernelTraitsILi128ELi4ELi8ELb1ELb1ELb0EEEv13SSMParamsBase
                                        ; -- End function
	.set _Z26selective_scan_vllm_kernelI18SSMFwdKernelTraitsILi128ELi4ELi8ELb1ELb1ELb0EEEv13SSMParamsBase.num_vgpr, 38
	.set _Z26selective_scan_vllm_kernelI18SSMFwdKernelTraitsILi128ELi4ELi8ELb1ELb1ELb0EEEv13SSMParamsBase.num_agpr, 0
	.set _Z26selective_scan_vllm_kernelI18SSMFwdKernelTraitsILi128ELi4ELi8ELb1ELb1ELb0EEEv13SSMParamsBase.numbered_sgpr, 62
	.set _Z26selective_scan_vllm_kernelI18SSMFwdKernelTraitsILi128ELi4ELi8ELb1ELb1ELb0EEEv13SSMParamsBase.num_named_barrier, 0
	.set _Z26selective_scan_vllm_kernelI18SSMFwdKernelTraitsILi128ELi4ELi8ELb1ELb1ELb0EEEv13SSMParamsBase.private_seg_size, 48
	.set _Z26selective_scan_vllm_kernelI18SSMFwdKernelTraitsILi128ELi4ELi8ELb1ELb1ELb0EEEv13SSMParamsBase.uses_vcc, 1
	.set _Z26selective_scan_vllm_kernelI18SSMFwdKernelTraitsILi128ELi4ELi8ELb1ELb1ELb0EEEv13SSMParamsBase.uses_flat_scratch, 0
	.set _Z26selective_scan_vllm_kernelI18SSMFwdKernelTraitsILi128ELi4ELi8ELb1ELb1ELb0EEEv13SSMParamsBase.has_dyn_sized_stack, 0
	.set _Z26selective_scan_vllm_kernelI18SSMFwdKernelTraitsILi128ELi4ELi8ELb1ELb1ELb0EEEv13SSMParamsBase.has_recursion, 0
	.set _Z26selective_scan_vllm_kernelI18SSMFwdKernelTraitsILi128ELi4ELi8ELb1ELb1ELb0EEEv13SSMParamsBase.has_indirect_call, 0
	.section	.AMDGPU.csdata,"",@progbits
; Kernel info:
; codeLenInByte = 4372
; TotalNumSgprs: 64
; NumVgprs: 38
; ScratchSize: 48
; MemoryBound: 0
; FloatMode: 240
; IeeeMode: 1
; LDSByteSize: 0 bytes/workgroup (compile time only)
; SGPRBlocks: 0
; VGPRBlocks: 4
; NumSGPRsForWavesPerEU: 64
; NumVGPRsForWavesPerEU: 38
; Occupancy: 16
; WaveLimiterHint : 0
; COMPUTE_PGM_RSRC2:SCRATCH_EN: 1
; COMPUTE_PGM_RSRC2:USER_SGPR: 6
; COMPUTE_PGM_RSRC2:TRAP_HANDLER: 0
; COMPUTE_PGM_RSRC2:TGID_X_EN: 1
; COMPUTE_PGM_RSRC2:TGID_Y_EN: 1
; COMPUTE_PGM_RSRC2:TGID_Z_EN: 0
; COMPUTE_PGM_RSRC2:TIDIG_COMP_CNT: 0
	.section	.text._Z26selective_scan_vllm_kernelI18SSMFwdKernelTraitsILi128ELi4ELi8ELb1ELb0ELb1EEEv13SSMParamsBase,"axG",@progbits,_Z26selective_scan_vllm_kernelI18SSMFwdKernelTraitsILi128ELi4ELi8ELb1ELb0ELb1EEEv13SSMParamsBase,comdat
	.protected	_Z26selective_scan_vllm_kernelI18SSMFwdKernelTraitsILi128ELi4ELi8ELb1ELb0ELb1EEEv13SSMParamsBase ; -- Begin function _Z26selective_scan_vllm_kernelI18SSMFwdKernelTraitsILi128ELi4ELi8ELb1ELb0ELb1EEEv13SSMParamsBase
	.globl	_Z26selective_scan_vllm_kernelI18SSMFwdKernelTraitsILi128ELi4ELi8ELb1ELb0ELb1EEEv13SSMParamsBase
	.p2align	8
	.type	_Z26selective_scan_vllm_kernelI18SSMFwdKernelTraitsILi128ELi4ELi8ELb1ELb0ELb1EEEv13SSMParamsBase,@function
_Z26selective_scan_vllm_kernelI18SSMFwdKernelTraitsILi128ELi4ELi8ELb1ELb0ELb1EEEv13SSMParamsBase: ; @_Z26selective_scan_vllm_kernelI18SSMFwdKernelTraitsILi128ELi4ELi8ELb1ELb0ELb1EEEv13SSMParamsBase
; %bb.0:
	s_add_u32 s0, s0, s8
	s_clause 0x1
	s_load_dword s8, s[4:5], 0x4
	s_load_dword s33, s[4:5], 0x10
	s_addc_u32 s1, s1, 0
	s_clause 0x3
	s_load_dwordx16 s[16:31], s[4:5], 0x18
	s_load_dwordx8 s[36:43], s[4:5], 0x58
	s_load_dwordx2 s[48:49], s[4:5], 0x88
	s_load_dwordx4 s[44:47], s[4:5], 0x78
	v_cmp_eq_u32_e64 s5, 0, v0
	s_abs_i32 s12, s6
	s_ashr_i32 s11, s6, 31
	s_mov_b32 s52, 0
	s_waitcnt lgkmcnt(0)
	s_abs_i32 s9, s8
	s_ashr_i32 s13, s8, 31
	v_cvt_f32_u32_e32 v1, s9
	s_sub_i32 s4, 0, s9
	v_rcp_iflag_f32_e32 v1, v1
	v_mul_f32_e32 v1, 0x4f7ffffe, v1
	v_cvt_u32_f32_e32 v1, v1
	v_readfirstlane_b32 s10, v1
	s_mul_i32 s4, s4, s10
	s_mul_hi_u32 s14, s10, s4
	v_cmp_ne_u32_e64 s4, 0, v0
	s_add_i32 s10, s10, s14
	s_mul_hi_u32 s10, s12, s10
	s_and_saveexec_b32 s14, s5
	s_cbranch_execz .LBB3_2
; %bb.1:
	v_mov_b32_e32 v1, 0x7f
	v_mov_b32_e32 v2, 3
	;; [unrolled: 1-line block ×3, first 2 shown]
	ds_write_b64 v3, v[1:2] offset:36960
.LBB3_2:
	s_or_b32 exec_lo, exec_lo, s14
	s_mul_i32 s14, s10, s9
	s_xor_b32 s11, s11, s13
	s_sub_i32 s12, s12, s14
	s_add_i32 s13, s10, 1
	s_sub_i32 s14, s12, s9
	s_cmp_ge_u32 s12, s9
	v_lshlrev_b32_e32 v9, 2, v0
	s_cselect_b32 s10, s13, s10
	s_cselect_b32 s12, s14, s12
	s_add_i32 s13, s10, 1
	s_cmp_ge_u32 s12, s9
	s_waitcnt lgkmcnt(0)
	s_cselect_b32 s9, s13, s10
	s_lshl_b32 s53, s7, 9
	s_xor_b32 s9, s9, s11
	v_or_b32_e32 v1, s53, v9
	s_sub_i32 s56, s9, s11
	s_barrier
	s_mul_i32 s10, s56, s8
	s_mul_i32 s8, s56, s44
	s_sub_i32 s50, s6, s10
	s_ashr_i32 s9, s8, 31
	v_ashrrev_i32_e32 v2, 31, v1
	s_lshl_b64 s[34:35], s[8:9], 2
	s_mul_i32 s8, s50, s45
	s_add_u32 s10, s16, s34
	s_addc_u32 s11, s17, s35
	s_ashr_i32 s9, s8, 31
	v_lshlrev_b64 v[1:2], 2, v[1:2]
	s_lshl_b64 s[44:45], s[8:9], 2
	buffer_gl0_inv
	s_add_u32 s8, s10, s44
	s_addc_u32 s9, s11, s45
	s_add_u32 s10, s18, s34
	s_addc_u32 s11, s19, s35
	;; [unrolled: 2-line block ×3, first 2 shown]
	v_add_co_u32 v3, vcc_lo, s10, v1
	v_add_co_ci_u32_e64 v4, null, s11, v2, vcc_lo
	v_add_co_u32 v7, vcc_lo, s8, v1
	v_add_co_ci_u32_e64 v8, null, s9, v2, vcc_lo
	global_load_dwordx4 v[3:6], v[3:4], off
	global_load_dwordx4 v[19:22], v[7:8], off
	s_ashr_i32 s51, s50, 31
	s_mul_i32 s57, s6, s33
	s_lshl_b64 s[54:55], s[50:51], 2
	v_mov_b32_e32 v10, 0
	s_add_u32 s10, s28, s54
	s_addc_u32 s11, s29, s55
	v_mbcnt_lo_u32_b32 v12, -1, 0
	s_load_dword s6, s[10:11], 0x0
	v_lshl_add_u32 v11, v0, 4, 0
	ds_read_b64 v[7:8], v10 offset:36960
	s_add_u32 s26, s26, s54
	v_and_b32_e32 v23, 16, v12
	v_and_b32_e32 v24, 3, v12
	v_add_nc_u32_e32 v15, 0x820, v11
	v_add_nc_u32_e32 v16, 0x828, v11
	s_addc_u32 s27, s27, s55
	v_or_b32_e32 v13, 31, v0
	v_cmp_ne_u32_e64 s15, 0, v23
	v_cmp_ne_u32_e64 s16, 0, v24
	v_cmp_lt_u32_e64 s17, 1, v24
	v_lshrrev_b32_e32 v14, 2, v0
	v_cmp_eq_u32_e64 s9, v0, v13
	v_sub_co_u32 v13, s10, v12, 1
	v_lshlrev_b32_e32 v17, 3, v0
	v_and_b32_e32 v18, 15, v12
	v_and_b32_e32 v14, 24, v14
	v_cmp_gt_i32_e32 vcc_lo, 0, v13
	v_cmp_gt_u32_e64 s19, 4, v0
	v_sub_nc_u32_e32 v25, 0, v17
	v_cmp_ne_u32_e64 s11, 0, v18
	v_cmp_lt_u32_e64 s12, 1, v18
	v_cmp_lt_u32_e64 s13, 3, v18
	;; [unrolled: 1-line block ×3, first 2 shown]
	v_cndmask_b32_e32 v12, v13, v12, vcc_lo
	v_add_nc_u32_e32 v18, 0, v14
	v_cmp_lt_u32_e64 s8, 31, v0
	v_add_nc_u32_e32 v17, 0x1020, v11
	s_waitcnt lgkmcnt(0)
	v_cmp_eq_u32_e64 s18, v0, v7
	s_waitcnt vmcnt(1)
	v_add_f32_e32 v3, s6, v3
	v_add_f32_e32 v4, s6, v4
	;; [unrolled: 1-line block ×4, first 2 shown]
	s_waitcnt vmcnt(0)
	ds_write2_b32 v11, v19, v20 offset0:8 offset1:9
	ds_write2_b32 v11, v21, v22 offset0:10 offset1:11
	ds_write2_b32 v15, v3, v4 offset1:1
	ds_write2_b32 v16, v5, v6 offset1:1
	s_waitcnt lgkmcnt(0)
	s_barrier
	buffer_gl0_inv
	s_load_dword s28, s[26:27], 0x0
	ds_read2_b32 v[4:5], v11 offset0:8 offset1:9
	ds_read2_b32 v[23:24], v11 offset0:10 offset1:11
	v_lshlrev_b32_e32 v6, 3, v8
	s_lshl_b32 s26, s50, 3
	s_cmp_lg_u32 s7, 0
	s_mul_i32 s6, s56, s46
	s_cselect_b32 s46, -1, 0
	s_ashr_i32 s27, s26, 31
	s_mul_i32 s56, s56, s48
	v_add3_u32 v3, s6, s53, v9
	s_mul_i32 s6, s50, s49
	v_lshlrev_b32_e32 v20, 2, v12
	v_add_nc_u32_e32 v21, -8, v18
	v_mov_b32_e32 v22, v6
	s_lshl_b64 s[26:27], s[26:27], 2
	s_add_i32 s6, s6, s56
	s_ashr_i32 s48, s7, 31
	s_lshl_b32 s49, s57, 3
	s_add_u32 s20, s20, s26
	s_addc_u32 s21, s21, s27
	s_waitcnt lgkmcnt(0)
	v_mul_f32_e32 v19, s28, v4
	v_mul_f32_e32 v14, s28, v5
	v_mul_f32_e32 v13, s28, v23
	v_mul_f32_e32 v12, s28, v24
	v_add_nc_u32_e32 v23, v11, v25
	s_mov_b32 s26, s6
	s_mov_b32 s50, 0
	s_branch .LBB3_4
.LBB3_3:                                ;   in Loop: Header=BB3_4 Depth=1
	s_or_b32 exec_lo, exec_lo, s27
	v_fmac_f32_e32 v24, v5, v27
	v_fmac_f32_e32 v28, v5, v26
	;; [unrolled: 1-line block ×4, first 2 shown]
	s_addk_i32 s50, 0x800
	s_waitcnt lgkmcnt(1)
	v_fmac_f32_e32 v19, v8, v24
	v_fmac_f32_e32 v14, v9, v28
	s_waitcnt lgkmcnt(0)
	v_fmac_f32_e32 v13, v6, v30
	v_fmac_f32_e32 v12, v7, v31
	s_add_i32 s52, s52, 4
	v_add_nc_u32_e32 v3, s47, v3
	s_add_i32 s26, s26, 1
	s_add_i32 s49, s49, s33
	s_add_u32 s20, s20, 4
	s_addc_u32 s21, s21, 0
	s_cmpk_eq_i32 s50, 0x4000
	s_waitcnt_vscnt null, 0x0
	s_barrier
	buffer_gl0_inv
	s_cbranch_scc1 .LBB3_32
.LBB3_4:                                ; =>This Inner Loop Header: Depth=1
	s_and_saveexec_b32 s51, s5
	s_cbranch_execz .LBB3_9
; %bb.5:                                ;   in Loop: Header=BB3_4 Depth=1
	s_and_b32 vcc_lo, exec_lo, s46
	s_cbranch_vccz .LBB3_31
; %bb.6:                                ;   in Loop: Header=BB3_4 Depth=1
	s_ashr_i32 s27, s49, 31
	s_add_u32 s28, s7, s49
	s_addc_u32 s29, s48, s27
	s_lshl_b64 s[28:29], s[28:29], 2
	s_add_u32 s54, s40, s28
	s_addc_u32 s55, s41, s29
	s_add_u32 s27, s42, s28
	global_load_dword v4, v10, s[54:55] offset:-4
	s_addc_u32 s29, s43, s29
	s_add_u32 s28, s27, -4
	s_addc_u32 s29, s29, -1
	s_cbranch_execnz .LBB3_8
.LBB3_7:                                ;   in Loop: Header=BB3_4 Depth=1
	s_ashr_i32 s27, s26, 31
	s_waitcnt vmcnt(0)
	v_mov_b32_e32 v4, 1.0
	s_lshl_b64 s[28:29], s[26:27], 2
	s_add_u32 s28, s36, s28
	s_addc_u32 s29, s37, s29
.LBB3_8:                                ;   in Loop: Header=BB3_4 Depth=1
	global_load_dword v5, v10, s[28:29]
	v_add_nc_u32_e64 v6, 0x9000, s52
	s_waitcnt vmcnt(0)
	ds_write2_b32 v6, v4, v5 offset0:8 offset1:16
.LBB3_9:                                ;   in Loop: Header=BB3_4 Depth=1
	s_or_b32 exec_lo, exec_lo, s51
	v_ashrrev_i32_e32 v4, 31, v3
	v_add_nc_u32_e64 v36, 0x9000, s52
	v_lshlrev_b64 v[4:5], 2, v[3:4]
	v_add_co_u32 v6, vcc_lo, s22, v4
	v_add_co_ci_u32_e64 v7, null, s23, v5, vcc_lo
	v_add_co_u32 v8, vcc_lo, s24, v4
	v_add_co_ci_u32_e64 v9, null, s25, v5, vcc_lo
	global_load_dwordx4 v[4:7], v[6:7], off
	global_load_dwordx4 v[26:29], v[8:9], off
	v_add_nc_u32_e32 v9, s50, v17
	v_add_nc_u32_e32 v8, 0x4000, v9
	;; [unrolled: 1-line block ×3, first 2 shown]
	s_waitcnt vmcnt(1)
	ds_write2_b32 v9, v4, v5 offset1:1
	s_waitcnt vmcnt(0)
	ds_write2_b32 v8, v26, v27 offset1:1
	ds_write2_b32 v9, v6, v7 offset0:2 offset1:3
	ds_write2_b32 v25, v28, v29 offset1:1
	s_waitcnt lgkmcnt(0)
	s_barrier
	buffer_gl0_inv
	global_load_dword v24, v10, s[20:21]
	ds_read2_b32 v[4:5], v15 offset1:1
	ds_read2_b32 v[6:7], v9 offset0:2 offset1:3
	ds_read2_b32 v[28:29], v16 offset1:1
	ds_read2_b32 v[30:31], v9 offset1:1
	ds_read2_b32 v[32:33], v11 offset0:8 offset1:9
	ds_read2_b32 v[38:39], v11 offset0:10 offset1:11
	s_waitcnt lgkmcnt(3)
	v_mul_f32_e32 v6, v28, v6
	v_mul_f32_e32 v7, v29, v7
	s_waitcnt vmcnt(0)
	v_mul_f32_e32 v9, v4, v24
	v_mul_f32_e32 v26, v5, v24
	;; [unrolled: 1-line block ×3, first 2 shown]
	s_waitcnt lgkmcnt(2)
	v_mul_f32_e32 v4, v4, v30
	v_mul_f32_e32 v30, v29, v24
	v_mul_f32_e32 v9, 0x3fb8aa3b, v9
	v_mul_f32_e32 v26, 0x3fb8aa3b, v26
	v_mul_f32_e32 v34, 0x3fb8aa3b, v27
	v_mul_f32_e32 v5, v5, v31
	s_waitcnt lgkmcnt(1)
	v_mul_f32_e32 v24, v32, v4
	v_exp_f32_e32 v27, v9
	v_exp_f32_e32 v35, v26
	v_mul_f32_e32 v4, 0x3fb8aa3b, v30
	v_exp_f32_e32 v37, v34
	v_mul_f32_e32 v9, v33, v5
	s_waitcnt lgkmcnt(0)
	v_mul_f32_e32 v33, v38, v6
	v_exp_f32_e32 v34, v4
	ds_read2_b32 v[4:5], v36 offset0:8 offset1:16
	v_mul_f32_e32 v36, v39, v7
	v_mul_f32_e32 v26, v27, v35
	v_fma_f32 v28, v24, v35, v9
	v_mul_f32_e32 v29, v26, v37
	v_fma_f32 v30, v28, v37, v33
	;; [unrolled: 2-line block ×3, first 2 shown]
	v_mov_b32_dpp v6, v32 row_shr:1 row_mask:0xf bank_mask:0xf
	v_mov_b32_dpp v7, v31 row_shr:1 row_mask:0xf bank_mask:0xf
	v_mov_b32_e32 v38, v31
	v_mov_b32_e32 v39, v32
	s_and_saveexec_b32 s27, s11
; %bb.10:                               ;   in Loop: Header=BB3_4 Depth=1
	v_mov_b32_e32 v38, v31
	v_mul_f32_e32 v39, v32, v6
	v_fmac_f32_e32 v38, v32, v7
; %bb.11:                               ;   in Loop: Header=BB3_4 Depth=1
	s_or_b32 exec_lo, exec_lo, s27
	v_mov_b32_dpp v7, v39 row_shr:2 row_mask:0xf bank_mask:0xf
	v_mov_b32_dpp v6, v38 row_shr:2 row_mask:0xf bank_mask:0xf
	s_and_saveexec_b32 s27, s12
; %bb.12:                               ;   in Loop: Header=BB3_4 Depth=1
	v_mul_f32_e32 v7, v39, v7
	v_fmac_f32_e32 v38, v39, v6
	v_mov_b32_e32 v39, v7
; %bb.13:                               ;   in Loop: Header=BB3_4 Depth=1
	s_or_b32 exec_lo, exec_lo, s27
	v_mov_b32_dpp v7, v39 row_shr:4 row_mask:0xf bank_mask:0xf
	v_mov_b32_dpp v6, v38 row_shr:4 row_mask:0xf bank_mask:0xf
	s_and_saveexec_b32 s27, s13
; %bb.14:                               ;   in Loop: Header=BB3_4 Depth=1
	v_mul_f32_e32 v7, v39, v7
	v_fmac_f32_e32 v38, v39, v6
	v_mov_b32_e32 v39, v7
	;; [unrolled: 9-line block ×3, first 2 shown]
; %bb.17:                               ;   in Loop: Header=BB3_4 Depth=1
	s_or_b32 exec_lo, exec_lo, s27
	ds_swizzle_b32 v6, v39 offset:swizzle(BROADCAST,32,15)
	ds_swizzle_b32 v7, v38 offset:swizzle(BROADCAST,32,15)
	s_and_saveexec_b32 s27, s15
	s_cbranch_execz .LBB3_19
; %bb.18:                               ;   in Loop: Header=BB3_4 Depth=1
	s_waitcnt lgkmcnt(0)
	v_fmac_f32_e32 v38, v39, v7
	v_mul_f32_e32 v39, v39, v6
.LBB3_19:                               ;   in Loop: Header=BB3_4 Depth=1
	s_or_b32 exec_lo, exec_lo, s27
	s_and_saveexec_b32 s27, s9
; %bb.20:                               ;   in Loop: Header=BB3_4 Depth=1
	ds_write2_b32 v18, v39, v38 offset1:1
; %bb.21:                               ;   in Loop: Header=BB3_4 Depth=1
	s_or_b32 exec_lo, exec_lo, s27
	s_waitcnt lgkmcnt(0)
	s_barrier
	buffer_gl0_inv
	s_and_saveexec_b32 s27, s19
	s_cbranch_execz .LBB3_25
; %bb.22:                               ;   in Loop: Header=BB3_4 Depth=1
	ds_read2_b32 v[6:7], v23 offset1:1
	s_waitcnt lgkmcnt(0)
	v_mov_b32_dpp v40, v6 row_shr:1 row_mask:0xf bank_mask:0xf
	v_mov_b32_dpp v41, v7 row_shr:1 row_mask:0xf bank_mask:0xf
	s_and_saveexec_b32 s28, s16
; %bb.23:                               ;   in Loop: Header=BB3_4 Depth=1
	v_fma_f32 v7, v6, v41, v7
	v_mul_f32_e32 v6, v6, v40
; %bb.24:                               ;   in Loop: Header=BB3_4 Depth=1
	s_or_b32 exec_lo, exec_lo, s28
	v_mov_b32_dpp v40, v6 row_shr:2 row_mask:0xf bank_mask:0xf
	v_mov_b32_dpp v41, v7 row_shr:2 row_mask:0xf bank_mask:0xf
	v_mul_f32_e32 v40, v6, v40
	v_fma_f32 v41, v6, v41, v7
	v_cndmask_b32_e64 v6, v6, v40, s17
	v_cndmask_b32_e64 v7, v7, v41, s17
	ds_write2_b32 v23, v6, v7 offset1:1
.LBB3_25:                               ;   in Loop: Header=BB3_4 Depth=1
	s_or_b32 exec_lo, exec_lo, s27
	s_waitcnt lgkmcnt(0)
	s_barrier
	buffer_gl0_inv
                                        ; implicit-def: $vgpr7
	s_and_saveexec_b32 s27, s8
	s_cbranch_execz .LBB3_27
; %bb.26:                               ;   in Loop: Header=BB3_4 Depth=1
	ds_read2_b32 v[6:7], v21 offset1:1
	s_waitcnt lgkmcnt(0)
	v_mul_f32_e32 v40, v39, v6
	v_fmac_f32_e32 v38, v39, v7
	v_mov_b32_e32 v39, v40
.LBB3_27:                               ;   in Loop: Header=BB3_4 Depth=1
	s_or_b32 exec_lo, exec_lo, s27
	ds_bpermute_b32 v39, v20, v39
	ds_bpermute_b32 v38, v20, v38
	s_and_saveexec_b32 s27, s4
	s_cbranch_execz .LBB3_29
; %bb.28:                               ;   in Loop: Header=BB3_4 Depth=1
	s_waitcnt lgkmcnt(0)
	v_cndmask_b32_e64 v7, v38, v7, s10
	v_cndmask_b32_e64 v6, v39, v6, s10
	;;#ASMSTART
	;;#ASMEND
	v_fmac_f32_e32 v24, v27, v7
	v_mul_f32_e32 v27, v27, v6
	v_fmac_f32_e32 v9, v24, v35
	v_mul_f32_e32 v26, v27, v35
	;; [unrolled: 2-line block ×3, first 2 shown]
	v_mov_b32_e32 v28, v9
	v_fmac_f32_e32 v36, v33, v34
	v_mul_f32_e32 v32, v29, v34
	v_mov_b32_e32 v30, v33
	v_mov_b32_e32 v31, v36
.LBB3_29:                               ;   in Loop: Header=BB3_4 Depth=1
	s_or_b32 exec_lo, exec_lo, s27
	buffer_store_dword v27, off, s[0:3], 0
	buffer_store_dword v24, off, s[0:3], 0 offset:4
	buffer_store_dword v26, off, s[0:3], 0 offset:8
	;; [unrolled: 1-line block ×7, first 2 shown]
	s_waitcnt lgkmcnt(0)
	s_waitcnt_vscnt null, 0x0
	s_barrier
	buffer_gl0_inv
	ds_read2_b32 v[8:9], v8 offset1:1
	ds_read2_b32 v[6:7], v25 offset1:1
	s_and_saveexec_b32 s27, s18
	s_cbranch_execz .LBB3_3
; %bb.30:                               ;   in Loop: Header=BB3_4 Depth=1
	s_clause 0x1
	buffer_load_dword v25, v22, s[0:3], 0 offen
	buffer_load_dword v33, v22, s[0:3], 0 offen offset:4
	s_add_i32 s28, s7, s49
	v_add_nc_u32_e64 v34, 0x9000, s52
	s_ashr_i32 s29, s28, 31
	s_lshl_b64 s[28:29], s[28:29], 2
	s_add_u32 s54, s40, s28
	s_addc_u32 s55, s41, s29
	s_add_u32 s28, s42, s28
	s_addc_u32 s29, s43, s29
	s_waitcnt vmcnt(1)
	v_mul_f32_e32 v4, v4, v25
	s_waitcnt vmcnt(0)
	v_fmac_f32_e32 v33, v5, v25
	global_store_dword v10, v4, s[54:55]
	global_store_dword v10, v33, s[28:29]
	ds_write2_b32 v34, v4, v33 offset0:8 offset1:16
	s_branch .LBB3_3
.LBB3_31:                               ;   in Loop: Header=BB3_4 Depth=1
                                        ; implicit-def: $sgpr28_sgpr29
                                        ; implicit-def: $vgpr4
	s_branch .LBB3_7
.LBB3_32:
	s_add_u32 s4, s30, s34
	s_addc_u32 s5, s31, s35
	s_add_u32 s4, s4, s44
	s_addc_u32 s5, s5, s45
	v_add_co_u32 v3, vcc_lo, s4, v1
	v_add_co_ci_u32_e64 v4, null, s5, v2, vcc_lo
	s_add_u32 s4, s38, s34
	s_addc_u32 s5, s39, s35
	s_add_u32 s4, s4, s44
	global_load_dword v5, v[3:4], off
	s_addc_u32 s5, s5, s45
	s_add_i32 s33, s33, -1
	s_cmp_eq_u32 s7, s33
	s_waitcnt vmcnt(0)
	v_mul_f32_e32 v6, 0xbfb8aa3b, v5
	v_exp_f32_e32 v6, v6
	v_add_f32_e32 v6, 1.0, v6
	v_div_scale_f32 v7, null, v6, v6, v5
	v_div_scale_f32 v10, vcc_lo, v5, v6, v5
	v_rcp_f32_e32 v8, v7
	v_fma_f32 v9, -v7, v8, 1.0
	v_fmac_f32_e32 v8, v9, v8
	v_mul_f32_e32 v9, v10, v8
	v_fma_f32 v11, -v7, v9, v10
	v_fmac_f32_e32 v9, v11, v8
	v_fma_f32 v7, -v7, v9, v10
	v_div_fmas_f32 v7, v7, v8, v9
	v_add_co_u32 v1, vcc_lo, s4, v1
	v_add_co_ci_u32_e64 v2, null, s5, v2, vcc_lo
	v_div_fixup_f32 v5, v7, v6, v5
	s_cselect_b32 s4, -1, 0
	v_mul_f32_e32 v5, v19, v5
	global_store_dword v[1:2], v5, off
	global_load_dword v5, v[3:4], off offset:4
	s_waitcnt vmcnt(0)
	v_mul_f32_e32 v6, 0xbfb8aa3b, v5
	v_exp_f32_e32 v6, v6
	v_add_f32_e32 v6, 1.0, v6
	v_div_scale_f32 v7, null, v6, v6, v5
	v_div_scale_f32 v10, vcc_lo, v5, v6, v5
	v_rcp_f32_e32 v8, v7
	v_fma_f32 v9, -v7, v8, 1.0
	v_fmac_f32_e32 v8, v9, v8
	v_mul_f32_e32 v9, v10, v8
	v_fma_f32 v11, -v7, v9, v10
	v_fmac_f32_e32 v9, v11, v8
	v_fma_f32 v7, -v7, v9, v10
	v_div_fmas_f32 v7, v7, v8, v9
	v_div_fixup_f32 v5, v7, v6, v5
	v_mul_f32_e32 v5, v14, v5
	global_store_dword v[1:2], v5, off offset:4
	global_load_dword v5, v[3:4], off offset:8
	s_waitcnt vmcnt(0)
	v_mul_f32_e32 v6, 0xbfb8aa3b, v5
	v_exp_f32_e32 v6, v6
	v_add_f32_e32 v6, 1.0, v6
	v_div_scale_f32 v7, null, v6, v6, v5
	v_div_scale_f32 v10, vcc_lo, v5, v6, v5
	v_rcp_f32_e32 v8, v7
	v_fma_f32 v9, -v7, v8, 1.0
	v_fmac_f32_e32 v8, v9, v8
	v_mul_f32_e32 v9, v10, v8
	v_fma_f32 v11, -v7, v9, v10
	v_fmac_f32_e32 v9, v11, v8
	v_fma_f32 v7, -v7, v9, v10
	v_div_fmas_f32 v7, v7, v8, v9
	v_div_fixup_f32 v5, v7, v6, v5
	v_mul_f32_e32 v5, v13, v5
	global_store_dword v[1:2], v5, off offset:8
	global_load_dword v3, v[3:4], off offset:12
	s_waitcnt vmcnt(0)
	v_mul_f32_e32 v4, 0xbfb8aa3b, v3
	v_exp_f32_e32 v4, v4
	v_add_f32_e32 v4, 1.0, v4
	v_div_scale_f32 v5, null, v4, v4, v3
	v_div_scale_f32 v8, vcc_lo, v3, v4, v3
	v_rcp_f32_e32 v6, v5
	v_fma_f32 v7, -v5, v6, 1.0
	v_fmac_f32_e32 v6, v7, v6
	v_mul_f32_e32 v7, v8, v6
	v_fma_f32 v9, -v5, v7, v8
	v_fmac_f32_e32 v7, v9, v6
	v_fma_f32 v5, -v5, v7, v8
	v_div_fmas_f32 v5, v5, v6, v7
	v_cmp_gt_u32_e32 vcc_lo, 8, v0
	v_div_fixup_f32 v3, v5, v4, v3
	s_and_b32 s4, s4, vcc_lo
	v_mul_f32_e32 v3, v12, v3
	global_store_dword v[1:2], v3, off offset:12
	s_and_saveexec_b32 s5, s4
	s_cbranch_execz .LBB3_34
; %bb.33:
	v_lshl_add_u32 v1, v0, 2, 0
	v_add_nc_u32_e32 v0, s6, v0
	ds_read_b32 v2, v1 offset:36928
	v_ashrrev_i32_e32 v1, 31, v0
	v_lshlrev_b64 v[0:1], 2, v[0:1]
	v_add_co_u32 v0, vcc_lo, s36, v0
	v_add_co_ci_u32_e64 v1, null, s37, v1, vcc_lo
	s_waitcnt lgkmcnt(0)
	global_store_dword v[0:1], v2, off
.LBB3_34:
	s_endpgm
	.section	.rodata,"a",@progbits
	.p2align	6, 0x0
	.amdhsa_kernel _Z26selective_scan_vllm_kernelI18SSMFwdKernelTraitsILi128ELi4ELi8ELb1ELb0ELb1EEEv13SSMParamsBase
		.amdhsa_group_segment_fixed_size 0
		.amdhsa_private_segment_fixed_size 48
		.amdhsa_kernarg_size 144
		.amdhsa_user_sgpr_count 6
		.amdhsa_user_sgpr_private_segment_buffer 1
		.amdhsa_user_sgpr_dispatch_ptr 0
		.amdhsa_user_sgpr_queue_ptr 0
		.amdhsa_user_sgpr_kernarg_segment_ptr 1
		.amdhsa_user_sgpr_dispatch_id 0
		.amdhsa_user_sgpr_flat_scratch_init 0
		.amdhsa_user_sgpr_private_segment_size 0
		.amdhsa_wavefront_size32 1
		.amdhsa_uses_dynamic_stack 0
		.amdhsa_system_sgpr_private_segment_wavefront_offset 1
		.amdhsa_system_sgpr_workgroup_id_x 1
		.amdhsa_system_sgpr_workgroup_id_y 1
		.amdhsa_system_sgpr_workgroup_id_z 0
		.amdhsa_system_sgpr_workgroup_info 0
		.amdhsa_system_vgpr_workitem_id 0
		.amdhsa_next_free_vgpr 42
		.amdhsa_next_free_sgpr 58
		.amdhsa_reserve_vcc 1
		.amdhsa_reserve_flat_scratch 0
		.amdhsa_float_round_mode_32 0
		.amdhsa_float_round_mode_16_64 0
		.amdhsa_float_denorm_mode_32 3
		.amdhsa_float_denorm_mode_16_64 3
		.amdhsa_dx10_clamp 1
		.amdhsa_ieee_mode 1
		.amdhsa_fp16_overflow 0
		.amdhsa_workgroup_processor_mode 1
		.amdhsa_memory_ordered 1
		.amdhsa_forward_progress 1
		.amdhsa_shared_vgpr_count 0
		.amdhsa_exception_fp_ieee_invalid_op 0
		.amdhsa_exception_fp_denorm_src 0
		.amdhsa_exception_fp_ieee_div_zero 0
		.amdhsa_exception_fp_ieee_overflow 0
		.amdhsa_exception_fp_ieee_underflow 0
		.amdhsa_exception_fp_ieee_inexact 0
		.amdhsa_exception_int_div_zero 0
	.end_amdhsa_kernel
	.section	.text._Z26selective_scan_vllm_kernelI18SSMFwdKernelTraitsILi128ELi4ELi8ELb1ELb0ELb1EEEv13SSMParamsBase,"axG",@progbits,_Z26selective_scan_vllm_kernelI18SSMFwdKernelTraitsILi128ELi4ELi8ELb1ELb0ELb1EEEv13SSMParamsBase,comdat
.Lfunc_end3:
	.size	_Z26selective_scan_vllm_kernelI18SSMFwdKernelTraitsILi128ELi4ELi8ELb1ELb0ELb1EEEv13SSMParamsBase, .Lfunc_end3-_Z26selective_scan_vllm_kernelI18SSMFwdKernelTraitsILi128ELi4ELi8ELb1ELb0ELb1EEEv13SSMParamsBase
                                        ; -- End function
	.set _Z26selective_scan_vllm_kernelI18SSMFwdKernelTraitsILi128ELi4ELi8ELb1ELb0ELb1EEEv13SSMParamsBase.num_vgpr, 42
	.set _Z26selective_scan_vllm_kernelI18SSMFwdKernelTraitsILi128ELi4ELi8ELb1ELb0ELb1EEEv13SSMParamsBase.num_agpr, 0
	.set _Z26selective_scan_vllm_kernelI18SSMFwdKernelTraitsILi128ELi4ELi8ELb1ELb0ELb1EEEv13SSMParamsBase.numbered_sgpr, 58
	.set _Z26selective_scan_vllm_kernelI18SSMFwdKernelTraitsILi128ELi4ELi8ELb1ELb0ELb1EEEv13SSMParamsBase.num_named_barrier, 0
	.set _Z26selective_scan_vllm_kernelI18SSMFwdKernelTraitsILi128ELi4ELi8ELb1ELb0ELb1EEEv13SSMParamsBase.private_seg_size, 48
	.set _Z26selective_scan_vllm_kernelI18SSMFwdKernelTraitsILi128ELi4ELi8ELb1ELb0ELb1EEEv13SSMParamsBase.uses_vcc, 1
	.set _Z26selective_scan_vllm_kernelI18SSMFwdKernelTraitsILi128ELi4ELi8ELb1ELb0ELb1EEEv13SSMParamsBase.uses_flat_scratch, 0
	.set _Z26selective_scan_vllm_kernelI18SSMFwdKernelTraitsILi128ELi4ELi8ELb1ELb0ELb1EEEv13SSMParamsBase.has_dyn_sized_stack, 0
	.set _Z26selective_scan_vllm_kernelI18SSMFwdKernelTraitsILi128ELi4ELi8ELb1ELb0ELb1EEEv13SSMParamsBase.has_recursion, 0
	.set _Z26selective_scan_vllm_kernelI18SSMFwdKernelTraitsILi128ELi4ELi8ELb1ELb0ELb1EEEv13SSMParamsBase.has_indirect_call, 0
	.section	.AMDGPU.csdata,"",@progbits
; Kernel info:
; codeLenInByte = 2716
; TotalNumSgprs: 60
; NumVgprs: 42
; ScratchSize: 48
; MemoryBound: 0
; FloatMode: 240
; IeeeMode: 1
; LDSByteSize: 0 bytes/workgroup (compile time only)
; SGPRBlocks: 0
; VGPRBlocks: 5
; NumSGPRsForWavesPerEU: 60
; NumVGPRsForWavesPerEU: 42
; Occupancy: 16
; WaveLimiterHint : 0
; COMPUTE_PGM_RSRC2:SCRATCH_EN: 1
; COMPUTE_PGM_RSRC2:USER_SGPR: 6
; COMPUTE_PGM_RSRC2:TRAP_HANDLER: 0
; COMPUTE_PGM_RSRC2:TGID_X_EN: 1
; COMPUTE_PGM_RSRC2:TGID_Y_EN: 1
; COMPUTE_PGM_RSRC2:TGID_Z_EN: 0
; COMPUTE_PGM_RSRC2:TIDIG_COMP_CNT: 0
	.section	.text._Z26selective_scan_vllm_kernelI18SSMFwdKernelTraitsILi128ELi4ELi8ELb1ELb0ELb0EEEv13SSMParamsBase,"axG",@progbits,_Z26selective_scan_vllm_kernelI18SSMFwdKernelTraitsILi128ELi4ELi8ELb1ELb0ELb0EEEv13SSMParamsBase,comdat
	.protected	_Z26selective_scan_vllm_kernelI18SSMFwdKernelTraitsILi128ELi4ELi8ELb1ELb0ELb0EEEv13SSMParamsBase ; -- Begin function _Z26selective_scan_vllm_kernelI18SSMFwdKernelTraitsILi128ELi4ELi8ELb1ELb0ELb0EEEv13SSMParamsBase
	.globl	_Z26selective_scan_vllm_kernelI18SSMFwdKernelTraitsILi128ELi4ELi8ELb1ELb0ELb0EEEv13SSMParamsBase
	.p2align	8
	.type	_Z26selective_scan_vllm_kernelI18SSMFwdKernelTraitsILi128ELi4ELi8ELb1ELb0ELb0EEEv13SSMParamsBase,@function
_Z26selective_scan_vllm_kernelI18SSMFwdKernelTraitsILi128ELi4ELi8ELb1ELb0ELb0EEEv13SSMParamsBase: ; @_Z26selective_scan_vllm_kernelI18SSMFwdKernelTraitsILi128ELi4ELi8ELb1ELb0ELb0EEEv13SSMParamsBase
; %bb.0:
	s_load_dwordx2 s[12:13], s[4:5], 0x4
	s_add_u32 s0, s0, s8
	s_addc_u32 s1, s1, 0
	s_clause 0x2
	s_load_dwordx16 s[36:51], s[4:5], 0x18
	s_load_dwordx2 s[22:23], s[4:5], 0x88
	s_load_dwordx4 s[28:31], s[4:5], 0x78
	v_cmp_ne_u32_e64 s24, 0, v0
	s_abs_i32 s15, s6
	s_ashr_i32 s14, s6, 31
	s_waitcnt lgkmcnt(0)
	s_abs_i32 s9, s12
	s_ashr_i32 s16, s12, 31
	v_cvt_f32_u32_e32 v1, s9
	s_sub_i32 s8, 0, s9
	v_rcp_iflag_f32_e32 v1, v1
	v_mul_f32_e32 v1, 0x4f7ffffe, v1
	v_cvt_u32_f32_e32 v1, v1
	v_readfirstlane_b32 s10, v1
	s_mul_i32 s8, s8, s10
	s_mul_hi_u32 s11, s10, s8
	v_cmp_eq_u32_e64 s8, 0, v0
	s_add_i32 s10, s10, s11
	s_mul_hi_u32 s11, s15, s10
	s_lshl_b32 s10, s7, 9
	s_and_saveexec_b32 s17, s8
	s_cbranch_execz .LBB4_2
; %bb.1:
	s_add_i32 s18, s10, 0x200
	s_not_b32 s19, s10
	s_min_i32 s18, s18, s13
	v_mov_b32_e32 v3, 0
	s_add_i32 s18, s18, s19
	s_ashr_i32 s19, s18, 31
	s_lshr_b32 s19, s19, 30
	s_add_i32 s19, s18, s19
	s_and_b32 s20, s19, -4
	s_ashr_i32 s19, s19, 2
	s_sub_i32 s18, s18, s20
	v_mov_b32_e32 v1, s19
	v_mov_b32_e32 v2, s18
	ds_write_b64 v3, v[1:2] offset:36960
.LBB4_2:
	s_or_b32 exec_lo, exec_lo, s17
	s_mul_i32 s17, s11, s9
	s_xor_b32 s14, s14, s16
	s_sub_i32 s15, s15, s17
	s_add_i32 s16, s11, 1
	s_sub_i32 s17, s15, s9
	s_cmp_ge_u32 s15, s9
	v_mov_b32_e32 v5, 0
	s_cselect_b32 s11, s16, s11
	s_cselect_b32 s15, s17, s15
	s_add_i32 s16, s11, 1
	s_cmp_ge_u32 s15, s9
	s_waitcnt lgkmcnt(0)
	s_cselect_b32 s9, s16, s11
	s_barrier
	s_xor_b32 s9, s9, s14
	buffer_gl0_inv
	s_sub_i32 s21, s9, s14
	ds_read_b64 v[3:4], v5 offset:36960
	s_mul_i32 s14, s21, s28
	s_mul_i32 s9, s21, s12
	s_ashr_i32 s15, s14, 31
	s_sub_i32 s34, s6, s9
	s_lshl_b64 s[26:27], s[14:15], 2
	v_lshlrev_b32_e32 v6, 2, v0
	s_mul_i32 s14, s34, s29
	s_add_u32 s9, s36, s26
	s_addc_u32 s11, s37, s27
	s_ashr_i32 s15, s14, 31
	v_add_nc_u32_e32 v1, s10, v6
	s_lshl_b64 s[28:29], s[14:15], 2
	v_mov_b32_e32 v7, 0
	s_add_u32 s20, s9, s28
	s_addc_u32 s25, s11, s29
	s_ashr_i32 s35, s34, 31
	v_cmp_le_i32_e64 s10, s13, v1
	s_lshl_b64 s[16:17], s[34:35], 2
	v_cmp_gt_i32_e64 s9, s13, v1
	v_ashrrev_i32_e32 v2, 31, v1
	s_add_u32 s14, s48, s16
	s_addc_u32 s15, s49, s17
	s_and_saveexec_b32 s11, s9
	s_cbranch_execz .LBB4_4
; %bb.3:
	v_lshlrev_b64 v[7:8], 2, v[1:2]
	v_add_co_u32 v7, vcc_lo, s20, v7
	v_add_co_ci_u32_e64 v8, null, s25, v8, vcc_lo
	global_load_dword v7, v[7:8], off
.LBB4_4:
	s_or_b32 exec_lo, exec_lo, s11
	s_load_dword s15, s[14:15], 0x0
	s_add_u32 s11, s38, s26
	s_addc_u32 s12, s39, s27
	s_add_u32 s18, s11, s28
	s_addc_u32 s19, s12, s29
	s_and_saveexec_b32 s11, s9
	s_cbranch_execz .LBB4_6
; %bb.5:
	v_lshlrev_b64 v[8:9], 2, v[1:2]
	v_add_co_u32 v8, vcc_lo, s18, v8
	v_add_co_ci_u32_e64 v9, null, s19, v9, vcc_lo
	global_load_dword v5, v[8:9], off
.LBB4_6:
	s_or_b32 exec_lo, exec_lo, s11
	v_lshl_add_u32 v9, v6, 2, 0
	v_or_b32_e32 v6, 1, v1
	s_waitcnt vmcnt(0) lgkmcnt(0)
	v_add_f32_e32 v8, s15, v5
	v_mov_b32_e32 v5, 0
	v_add_nc_u32_e32 v10, 32, v9
	v_cmp_gt_i32_e64 s11, s13, v6
	v_mov_b32_e32 v6, 0
	ds_write2st64_b32 v10, v7, v8 offset1:8
	s_and_saveexec_b32 s12, s11
	s_cbranch_execz .LBB4_8
; %bb.7:
	v_lshlrev_b64 v[7:8], 2, v[1:2]
	v_add_co_u32 v7, vcc_lo, s20, v7
	v_add_co_ci_u32_e64 v8, null, s25, v8, vcc_lo
	global_load_dword v5, v[7:8], off offset:4
.LBB4_8:
	s_or_b32 exec_lo, exec_lo, s12
	s_and_saveexec_b32 s12, s11
	s_cbranch_execz .LBB4_10
; %bb.9:
	v_lshlrev_b64 v[6:7], 2, v[1:2]
	v_add_co_u32 v6, vcc_lo, s18, v6
	v_add_co_ci_u32_e64 v7, null, s19, v7, vcc_lo
	global_load_dword v6, v[6:7], off offset:4
.LBB4_10:
	s_or_b32 exec_lo, exec_lo, s12
	v_or_b32_e32 v8, 2, v1
	s_waitcnt vmcnt(0)
	v_add_f32_e32 v10, s15, v6
	v_add_nc_u32_e32 v11, 36, v9
	v_mov_b32_e32 v7, 0
	v_mov_b32_e32 v6, 0
	v_cmp_gt_i32_e64 s12, s13, v8
	ds_write2st64_b32 v11, v5, v10 offset1:8
	s_and_saveexec_b32 s14, s12
	s_cbranch_execz .LBB4_12
; %bb.11:
	v_lshlrev_b64 v[5:6], 2, v[1:2]
	v_add_co_u32 v5, vcc_lo, s20, v5
	v_add_co_ci_u32_e64 v6, null, s25, v6, vcc_lo
	global_load_dword v6, v[5:6], off offset:8
.LBB4_12:
	s_or_b32 exec_lo, exec_lo, s14
	s_and_saveexec_b32 s14, s12
	s_cbranch_execz .LBB4_14
; %bb.13:
	v_lshlrev_b64 v[7:8], 2, v[1:2]
	v_add_co_u32 v7, vcc_lo, s18, v7
	v_add_co_ci_u32_e64 v8, null, s19, v8, vcc_lo
	global_load_dword v7, v[7:8], off offset:8
.LBB4_14:
	s_or_b32 exec_lo, exec_lo, s14
	v_or_b32_e32 v5, 3, v1
	s_waitcnt vmcnt(0)
	v_add_f32_e32 v7, s15, v7
	v_add_nc_u32_e32 v8, 40, v9
	v_cmp_le_i32_e32 vcc_lo, s13, v5
	v_cmp_gt_i32_e64 s13, s13, v5
	v_mov_b32_e32 v5, 0
	ds_write2st64_b32 v8, v6, v7 offset1:8
	s_and_saveexec_b32 s33, s13
	s_cbranch_execz .LBB4_16
; %bb.15:
	v_lshlrev_b64 v[5:6], 2, v[1:2]
	v_add_co_u32 v5, s14, s20, v5
	v_add_co_ci_u32_e64 v6, null, s25, v6, s14
	global_load_dword v5, v[5:6], off offset:12
.LBB4_16:
	s_or_b32 exec_lo, exec_lo, s33
	s_and_saveexec_b32 s14, vcc_lo
	s_xor_b32 s14, exec_lo, s14
	s_or_saveexec_b32 s14, s14
	s_clause 0x1
	s_load_dword s25, s[4:5], 0x10
	s_load_dwordx8 s[52:59], s[4:5], 0x58
	v_mov_b32_e32 v13, 0
	v_mov_b32_e32 v6, 0
	s_xor_b32 exec_lo, exec_lo, s14
	s_cbranch_execz .LBB4_18
; %bb.17:
	v_lshlrev_b64 v[6:7], 2, v[1:2]
	v_add_co_u32 v6, vcc_lo, s18, v6
	v_add_co_ci_u32_e64 v7, null, s19, v7, vcc_lo
	global_load_dword v6, v[6:7], off offset:12
.LBB4_18:
	s_or_b32 exec_lo, exec_lo, s14
	s_waitcnt vmcnt(0)
	v_add_f32_e32 v6, s15, v6
	v_add_nc_u32_e32 v7, 44, v9
	s_add_u32 s4, s46, s16
	s_addc_u32 s5, s47, s17
	v_mbcnt_lo_u32_b32 v16, -1, 0
	v_or_b32_e32 v15, 31, v0
	ds_write2st64_b32 v7, v5, v6 offset1:8
	s_waitcnt lgkmcnt(0)
	s_barrier
	buffer_gl0_inv
	s_load_dword s15, s[4:5], 0x0
	ds_read2_b32 v[5:6], v9 offset0:8 offset1:9
	ds_read2_b32 v[7:8], v9 offset0:10 offset1:11
	v_sub_co_u32 v19, s4, v16, 1
	v_cmp_eq_u32_e64 s18, v0, v15
	v_and_b32_e32 v17, 15, v16
	s_lshl_b32 s36, s34, 3
	v_cmp_gt_i32_e32 vcc_lo, 0, v19
	v_and_b32_e32 v18, 16, v16
	v_lshlrev_b32_e32 v4, 3, v4
	s_cmp_lg_u32 s7, 0
	s_mul_i32 s33, s21, s30
	s_cselect_b32 s47, -1, 0
	s_mul_i32 s21, s21, s22
	s_mul_i32 s30, s34, s23
	s_ashr_i32 s37, s36, 31
	s_mul_i32 s6, s6, s25
	v_cmp_ne_u32_e64 s5, 0, v17
	v_cmp_lt_u32_e64 s14, 1, v17
	v_cmp_lt_u32_e64 s16, 7, v17
	s_waitcnt lgkmcnt(0)
	v_mul_f32_e32 v14, s15, v5
	v_mul_f32_e32 v12, s15, v6
	v_cndmask_b32_e32 v5, v19, v16, vcc_lo
	v_lshrrev_b32_e32 v6, 2, v0
	v_mul_f32_e32 v11, s15, v7
	v_and_b32_e32 v7, 3, v16
	v_mul_f32_e32 v10, s15, v8
	v_lshlrev_b32_e32 v15, 2, v5
	v_and_b32_e32 v5, 24, v6
	v_lshlrev_b32_e32 v6, 3, v0
	v_cmp_lt_u32_e64 s15, 3, v17
	v_cmp_ne_u32_e64 s17, 0, v18
	v_cmp_gt_u32_e64 s19, 4, v0
	v_add_nc_u32_e32 v16, 0, v5
	v_sub_nc_u32_e32 v5, 0, v6
	v_cmp_lt_u32_e64 s20, 31, v0
	s_add_i32 s30, s30, s21
	v_cmp_ne_u32_e64 s21, 0, v7
	v_cmp_lt_u32_e64 s22, 1, v7
	v_add_nc_u32_e32 v17, -8, v16
	v_cmp_eq_u32_e64 s23, v0, v3
	v_mov_b32_e32 v18, v4
	v_lshl_add_u32 v19, v0, 4, 0x1020
	s_lshl_b64 s[34:35], s[36:37], 2
	v_add_nc_u32_e32 v20, v9, v5
	s_ashr_i32 s48, s7, 31
	s_lshl_b32 s6, s6, 3
	s_add_u32 s34, s40, s34
	s_mov_b32 s46, 0
	s_addc_u32 s35, s41, s35
	s_mov_b32 s36, s30
	s_branch .LBB4_20
.LBB4_19:                               ;   in Loop: Header=BB4_20 Depth=1
	s_or_b32 exec_lo, exec_lo, s38
	v_fmac_f32_e32 v21, v4, v23
	v_fmac_f32_e32 v24, v4, v22
	;; [unrolled: 1-line block ×4, first 2 shown]
	v_add_nc_u32_e32 v19, 0x800, v19
	s_waitcnt lgkmcnt(1)
	v_fmac_f32_e32 v14, v7, v21
	v_fmac_f32_e32 v12, v8, v24
	s_waitcnt lgkmcnt(0)
	v_fmac_f32_e32 v11, v5, v26
	v_fmac_f32_e32 v10, v6, v27
	s_add_i32 s46, s46, 4
	s_add_i32 s33, s33, s31
	;; [unrolled: 1-line block ×4, first 2 shown]
	s_add_u32 s34, s34, 4
	s_addc_u32 s35, s35, 0
	s_cmp_eq_u32 s46, 32
	s_waitcnt_vscnt null, 0x0
	s_barrier
	buffer_gl0_inv
	s_cbranch_scc1 .LBB4_64
.LBB4_20:                               ; =>This Inner Loop Header: Depth=1
	s_and_saveexec_b32 s40, s8
	s_cbranch_execz .LBB4_25
; %bb.21:                               ;   in Loop: Header=BB4_20 Depth=1
	s_and_b32 vcc_lo, exec_lo, s47
	s_cbranch_vccz .LBB4_63
; %bb.22:                               ;   in Loop: Header=BB4_20 Depth=1
	s_ashr_i32 s37, s6, 31
	s_add_u32 s38, s7, s6
	s_addc_u32 s39, s48, s37
	s_lshl_b64 s[38:39], s[38:39], 2
	s_add_u32 s60, s56, s38
	s_addc_u32 s61, s57, s39
	s_add_u32 s37, s58, s38
	global_load_dword v3, v13, s[60:61] offset:-4
	s_addc_u32 s39, s59, s39
	s_add_u32 s38, s37, -4
	s_addc_u32 s39, s39, -1
	s_cbranch_execnz .LBB4_24
.LBB4_23:                               ;   in Loop: Header=BB4_20 Depth=1
	s_ashr_i32 s37, s36, 31
	s_waitcnt vmcnt(0)
	v_mov_b32_e32 v3, 1.0
	s_lshl_b64 s[38:39], s[36:37], 2
	s_add_u32 s38, s52, s38
	s_addc_u32 s39, s53, s39
.LBB4_24:                               ;   in Loop: Header=BB4_20 Depth=1
	global_load_dword v4, v13, s[38:39]
	s_add_i32 s37, s46, 0
	v_add_nc_u32_e64 v5, 0x9000, s37
	s_waitcnt vmcnt(0)
	ds_write2_b32 v5, v3, v4 offset0:8 offset1:16
.LBB4_25:                               ;   in Loop: Header=BB4_20 Depth=1
	s_or_b32 exec_lo, exec_lo, s40
	v_add_nc_u32_e32 v7, 0, v19
	s_and_saveexec_b32 s37, s10
	s_xor_b32 s37, exec_lo, s37
; %bb.26:                               ;   in Loop: Header=BB4_20 Depth=1
	ds_write_b32 v7, v13
; %bb.27:                               ;   in Loop: Header=BB4_20 Depth=1
	s_or_saveexec_b32 s37, s37
	v_mov_b32_e32 v3, 0
	v_mov_b32_e32 v4, 0
	s_xor_b32 exec_lo, exec_lo, s37
	s_cbranch_execz .LBB4_29
; %bb.28:                               ;   in Loop: Header=BB4_20 Depth=1
	v_add_nc_u32_e32 v4, s33, v1
	v_ashrrev_i32_e32 v5, 31, v4
	v_lshlrev_b64 v[4:5], 2, v[4:5]
	v_add_co_u32 v21, vcc_lo, s42, v4
	v_add_co_ci_u32_e64 v22, null, s43, v5, vcc_lo
	v_add_co_u32 v4, vcc_lo, s44, v4
	v_add_co_ci_u32_e64 v5, null, s45, v5, vcc_lo
	global_load_dword v6, v[21:22], off
	global_load_dword v4, v[4:5], off
	s_waitcnt vmcnt(1)
	ds_write_b32 v7, v6
.LBB4_29:                               ;   in Loop: Header=BB4_20 Depth=1
	s_or_b32 exec_lo, exec_lo, s37
	s_waitcnt vmcnt(0)
	ds_write_b32 v7, v4 offset:16384
	s_and_saveexec_b32 s37, s11
	s_cbranch_execz .LBB4_31
; %bb.30:                               ;   in Loop: Header=BB4_20 Depth=1
	s_ashr_i32 s38, s33, 31
	v_add_co_u32 v3, vcc_lo, s33, v1
	v_add_co_ci_u32_e64 v4, null, s38, v2, vcc_lo
	v_lshlrev_b64 v[3:4], 2, v[3:4]
	v_add_co_u32 v3, vcc_lo, s42, v3
	v_add_co_ci_u32_e64 v4, null, s43, v4, vcc_lo
	global_load_dword v3, v[3:4], off offset:4
.LBB4_31:                               ;   in Loop: Header=BB4_20 Depth=1
	s_or_b32 exec_lo, exec_lo, s37
	v_mov_b32_e32 v4, 0
	v_mov_b32_e32 v5, 0
	s_waitcnt vmcnt(0)
	ds_write_b32 v7, v3 offset:4
	s_and_saveexec_b32 s37, s11
	s_cbranch_execz .LBB4_33
; %bb.32:                               ;   in Loop: Header=BB4_20 Depth=1
	s_ashr_i32 s38, s33, 31
	v_add_co_u32 v5, vcc_lo, s33, v1
	v_add_co_ci_u32_e64 v6, null, s38, v2, vcc_lo
	v_lshlrev_b64 v[5:6], 2, v[5:6]
	v_add_co_u32 v5, vcc_lo, s44, v5
	v_add_co_ci_u32_e64 v6, null, s45, v6, vcc_lo
	global_load_dword v5, v[5:6], off offset:4
.LBB4_33:                               ;   in Loop: Header=BB4_20 Depth=1
	s_or_b32 exec_lo, exec_lo, s37
	s_waitcnt vmcnt(0)
	ds_write_b32 v7, v5 offset:16388
	s_and_saveexec_b32 s37, s12
	s_cbranch_execz .LBB4_35
; %bb.34:                               ;   in Loop: Header=BB4_20 Depth=1
	s_ashr_i32 s38, s33, 31
	v_add_co_u32 v3, vcc_lo, s33, v1
	v_add_co_ci_u32_e64 v4, null, s38, v2, vcc_lo
	v_lshlrev_b64 v[3:4], 2, v[3:4]
	v_add_co_u32 v3, vcc_lo, s42, v3
	v_add_co_ci_u32_e64 v4, null, s43, v4, vcc_lo
	global_load_dword v4, v[3:4], off offset:8
.LBB4_35:                               ;   in Loop: Header=BB4_20 Depth=1
	s_or_b32 exec_lo, exec_lo, s37
	v_mov_b32_e32 v3, 0
	v_mov_b32_e32 v5, 0
	s_waitcnt vmcnt(0)
	ds_write_b32 v7, v4 offset:8
	s_and_saveexec_b32 s37, s12
	s_cbranch_execz .LBB4_37
; %bb.36:                               ;   in Loop: Header=BB4_20 Depth=1
	s_ashr_i32 s38, s33, 31
	v_add_co_u32 v4, vcc_lo, s33, v1
	v_add_co_ci_u32_e64 v5, null, s38, v2, vcc_lo
	v_lshlrev_b64 v[4:5], 2, v[4:5]
	v_add_co_u32 v4, vcc_lo, s44, v4
	v_add_co_ci_u32_e64 v5, null, s45, v5, vcc_lo
	global_load_dword v5, v[4:5], off offset:8
.LBB4_37:                               ;   in Loop: Header=BB4_20 Depth=1
	s_or_b32 exec_lo, exec_lo, s37
	s_waitcnt vmcnt(0)
	ds_write_b32 v7, v5 offset:16392
	s_and_saveexec_b32 s37, s13
	s_cbranch_execz .LBB4_39
; %bb.38:                               ;   in Loop: Header=BB4_20 Depth=1
	s_ashr_i32 s38, s33, 31
	v_add_co_u32 v3, vcc_lo, s33, v1
	v_add_co_ci_u32_e64 v4, null, s38, v2, vcc_lo
	v_lshlrev_b64 v[3:4], 2, v[3:4]
	v_add_co_u32 v3, vcc_lo, s42, v3
	v_add_co_ci_u32_e64 v4, null, s43, v4, vcc_lo
	global_load_dword v3, v[3:4], off offset:12
.LBB4_39:                               ;   in Loop: Header=BB4_20 Depth=1
	s_or_b32 exec_lo, exec_lo, s37
	v_mov_b32_e32 v4, 0
	s_waitcnt vmcnt(0)
	ds_write_b32 v7, v3 offset:12
	s_and_saveexec_b32 s37, s13
	s_cbranch_execz .LBB4_41
; %bb.40:                               ;   in Loop: Header=BB4_20 Depth=1
	s_ashr_i32 s38, s33, 31
	v_add_co_u32 v3, vcc_lo, s33, v1
	v_add_co_ci_u32_e64 v4, null, s38, v2, vcc_lo
	v_lshlrev_b64 v[3:4], 2, v[3:4]
	v_add_co_u32 v3, vcc_lo, s44, v3
	v_add_co_ci_u32_e64 v4, null, s45, v4, vcc_lo
	global_load_dword v4, v[3:4], off offset:12
.LBB4_41:                               ;   in Loop: Header=BB4_20 Depth=1
	s_or_b32 exec_lo, exec_lo, s37
	s_waitcnt vmcnt(0)
	ds_write_b32 v7, v4 offset:16396
	s_waitcnt lgkmcnt(0)
	s_barrier
	buffer_gl0_inv
	global_load_dword v8, v13, s[34:35]
	v_add_nc_u32_e32 v3, 0x820, v9
	v_add_nc_u32_e32 v21, 0x828, v9
	ds_read2_b32 v[3:4], v3 offset1:1
	ds_read2_b32 v[5:6], v7 offset0:2 offset1:3
	ds_read2_b32 v[21:22], v21 offset1:1
	ds_read2_b32 v[23:24], v7 offset1:1
	ds_read2_b32 v[25:26], v9 offset0:8 offset1:9
	ds_read2_b32 v[27:28], v9 offset0:10 offset1:11
	s_add_i32 s37, s46, 0
	v_add_nc_u32_e64 v32, 0x9000, s37
	s_waitcnt lgkmcnt(3)
	v_mul_f32_e32 v5, v21, v5
	v_mul_f32_e32 v6, v22, v6
	s_waitcnt vmcnt(0)
	v_mul_f32_e32 v29, v3, v8
	v_mul_f32_e32 v30, v4, v8
	;; [unrolled: 1-line block ×3, first 2 shown]
	s_waitcnt lgkmcnt(2)
	v_mul_f32_e32 v3, v3, v23
	v_mul_f32_e32 v8, v22, v8
	v_mul_f32_e32 v29, 0x3fb8aa3b, v29
	v_mul_f32_e32 v30, 0x3fb8aa3b, v30
	v_mul_f32_e32 v33, 0x3fb8aa3b, v31
	v_mul_f32_e32 v4, v4, v24
	s_waitcnt lgkmcnt(1)
	v_mul_f32_e32 v21, v25, v3
	v_exp_f32_e32 v23, v29
	v_exp_f32_e32 v31, v30
	v_mul_f32_e32 v3, 0x3fb8aa3b, v8
	v_exp_f32_e32 v33, v33
	v_mul_f32_e32 v8, v26, v4
	s_waitcnt lgkmcnt(0)
	v_mul_f32_e32 v29, v27, v5
	v_exp_f32_e32 v30, v3
	ds_read2_b32 v[3:4], v32 offset0:8 offset1:16
	v_mul_f32_e32 v32, v28, v6
	v_mul_f32_e32 v22, v23, v31
	v_fma_f32 v24, v21, v31, v8
	v_mul_f32_e32 v25, v22, v33
	v_fma_f32 v26, v24, v33, v29
	;; [unrolled: 2-line block ×3, first 2 shown]
	v_mov_b32_dpp v5, v28 row_shr:1 row_mask:0xf bank_mask:0xf
	v_mov_b32_dpp v6, v27 row_shr:1 row_mask:0xf bank_mask:0xf
	v_mov_b32_e32 v34, v27
	v_mov_b32_e32 v35, v28
	s_and_saveexec_b32 s38, s5
; %bb.42:                               ;   in Loop: Header=BB4_20 Depth=1
	v_mov_b32_e32 v34, v27
	v_mul_f32_e32 v35, v28, v5
	v_fmac_f32_e32 v34, v28, v6
; %bb.43:                               ;   in Loop: Header=BB4_20 Depth=1
	s_or_b32 exec_lo, exec_lo, s38
	v_mov_b32_dpp v6, v35 row_shr:2 row_mask:0xf bank_mask:0xf
	v_mov_b32_dpp v5, v34 row_shr:2 row_mask:0xf bank_mask:0xf
	s_and_saveexec_b32 s38, s14
; %bb.44:                               ;   in Loop: Header=BB4_20 Depth=1
	v_mul_f32_e32 v6, v35, v6
	v_fmac_f32_e32 v34, v35, v5
	v_mov_b32_e32 v35, v6
; %bb.45:                               ;   in Loop: Header=BB4_20 Depth=1
	s_or_b32 exec_lo, exec_lo, s38
	v_mov_b32_dpp v6, v35 row_shr:4 row_mask:0xf bank_mask:0xf
	v_mov_b32_dpp v5, v34 row_shr:4 row_mask:0xf bank_mask:0xf
	s_and_saveexec_b32 s38, s15
; %bb.46:                               ;   in Loop: Header=BB4_20 Depth=1
	v_mul_f32_e32 v6, v35, v6
	v_fmac_f32_e32 v34, v35, v5
	v_mov_b32_e32 v35, v6
	;; [unrolled: 9-line block ×3, first 2 shown]
; %bb.49:                               ;   in Loop: Header=BB4_20 Depth=1
	s_or_b32 exec_lo, exec_lo, s38
	ds_swizzle_b32 v5, v35 offset:swizzle(BROADCAST,32,15)
	ds_swizzle_b32 v6, v34 offset:swizzle(BROADCAST,32,15)
	s_and_saveexec_b32 s38, s17
	s_cbranch_execz .LBB4_51
; %bb.50:                               ;   in Loop: Header=BB4_20 Depth=1
	s_waitcnt lgkmcnt(0)
	v_fmac_f32_e32 v34, v35, v6
	v_mul_f32_e32 v35, v35, v5
.LBB4_51:                               ;   in Loop: Header=BB4_20 Depth=1
	s_or_b32 exec_lo, exec_lo, s38
	s_and_saveexec_b32 s38, s18
; %bb.52:                               ;   in Loop: Header=BB4_20 Depth=1
	ds_write2_b32 v16, v35, v34 offset1:1
; %bb.53:                               ;   in Loop: Header=BB4_20 Depth=1
	s_or_b32 exec_lo, exec_lo, s38
	s_waitcnt lgkmcnt(0)
	s_barrier
	buffer_gl0_inv
	s_and_saveexec_b32 s38, s19
	s_cbranch_execz .LBB4_57
; %bb.54:                               ;   in Loop: Header=BB4_20 Depth=1
	ds_read2_b32 v[5:6], v20 offset1:1
	s_waitcnt lgkmcnt(0)
	v_mov_b32_dpp v36, v5 row_shr:1 row_mask:0xf bank_mask:0xf
	v_mov_b32_dpp v37, v6 row_shr:1 row_mask:0xf bank_mask:0xf
	s_and_saveexec_b32 s39, s21
; %bb.55:                               ;   in Loop: Header=BB4_20 Depth=1
	v_fma_f32 v6, v5, v37, v6
	v_mul_f32_e32 v5, v5, v36
; %bb.56:                               ;   in Loop: Header=BB4_20 Depth=1
	s_or_b32 exec_lo, exec_lo, s39
	v_mov_b32_dpp v36, v5 row_shr:2 row_mask:0xf bank_mask:0xf
	v_mov_b32_dpp v37, v6 row_shr:2 row_mask:0xf bank_mask:0xf
	v_mul_f32_e32 v36, v5, v36
	v_fma_f32 v37, v5, v37, v6
	v_cndmask_b32_e64 v5, v5, v36, s22
	v_cndmask_b32_e64 v6, v6, v37, s22
	ds_write2_b32 v20, v5, v6 offset1:1
.LBB4_57:                               ;   in Loop: Header=BB4_20 Depth=1
	s_or_b32 exec_lo, exec_lo, s38
	s_waitcnt lgkmcnt(0)
	s_barrier
	buffer_gl0_inv
                                        ; implicit-def: $vgpr6
	s_and_saveexec_b32 s38, s20
	s_cbranch_execz .LBB4_59
; %bb.58:                               ;   in Loop: Header=BB4_20 Depth=1
	ds_read2_b32 v[5:6], v17 offset1:1
	s_waitcnt lgkmcnt(0)
	v_mul_f32_e32 v36, v35, v5
	v_fmac_f32_e32 v34, v35, v6
	v_mov_b32_e32 v35, v36
.LBB4_59:                               ;   in Loop: Header=BB4_20 Depth=1
	s_or_b32 exec_lo, exec_lo, s38
	ds_bpermute_b32 v35, v15, v35
	ds_bpermute_b32 v34, v15, v34
	s_and_saveexec_b32 s38, s24
	s_cbranch_execz .LBB4_61
; %bb.60:                               ;   in Loop: Header=BB4_20 Depth=1
	s_waitcnt lgkmcnt(0)
	v_cndmask_b32_e64 v6, v34, v6, s4
	v_cndmask_b32_e64 v5, v35, v5, s4
	;;#ASMSTART
	;;#ASMEND
	v_fmac_f32_e32 v21, v23, v6
	v_mul_f32_e32 v23, v23, v5
	v_fmac_f32_e32 v8, v21, v31
	v_mul_f32_e32 v22, v23, v31
	;; [unrolled: 2-line block ×3, first 2 shown]
	v_mov_b32_e32 v24, v8
	v_fmac_f32_e32 v32, v29, v30
	v_mul_f32_e32 v28, v25, v30
	v_mov_b32_e32 v26, v29
	v_mov_b32_e32 v27, v32
.LBB4_61:                               ;   in Loop: Header=BB4_20 Depth=1
	s_or_b32 exec_lo, exec_lo, s38
	v_add_nc_u32_e32 v5, 0x4000, v7
	v_add_nc_u32_e32 v6, 0x4008, v7
	buffer_store_dword v23, off, s[0:3], 0
	buffer_store_dword v21, off, s[0:3], 0 offset:4
	buffer_store_dword v22, off, s[0:3], 0 offset:8
	;; [unrolled: 1-line block ×7, first 2 shown]
	s_waitcnt lgkmcnt(0)
	s_waitcnt_vscnt null, 0x0
	s_barrier
	buffer_gl0_inv
	ds_read2_b32 v[7:8], v5 offset1:1
	ds_read2_b32 v[5:6], v6 offset1:1
	s_and_saveexec_b32 s38, s23
	s_cbranch_execz .LBB4_19
; %bb.62:                               ;   in Loop: Header=BB4_20 Depth=1
	s_clause 0x1
	buffer_load_dword v29, v18, s[0:3], 0 offen
	buffer_load_dword v30, v18, s[0:3], 0 offen offset:4
	s_add_i32 s40, s7, s6
	v_add_nc_u32_e64 v31, 0x9000, s37
	s_ashr_i32 s41, s40, 31
	s_lshl_b64 s[40:41], s[40:41], 2
	s_add_u32 s60, s56, s40
	s_addc_u32 s61, s57, s41
	s_add_u32 s40, s58, s40
	s_addc_u32 s41, s59, s41
	s_waitcnt vmcnt(1)
	v_mul_f32_e32 v3, v3, v29
	s_waitcnt vmcnt(0)
	v_fmac_f32_e32 v30, v4, v29
	global_store_dword v13, v3, s[60:61]
	global_store_dword v13, v30, s[40:41]
	ds_write2_b32 v31, v3, v30 offset0:8 offset1:16
	s_branch .LBB4_19
.LBB4_63:                               ;   in Loop: Header=BB4_20 Depth=1
                                        ; implicit-def: $sgpr38_sgpr39
                                        ; implicit-def: $vgpr3
	s_branch .LBB4_23
.LBB4_64:
	s_add_u32 s4, s50, s26
	s_addc_u32 s5, s51, s27
	s_add_u32 s6, s4, s28
	s_addc_u32 s8, s5, s29
	v_lshlrev_b64 v[1:2], 2, v[1:2]
	s_add_u32 s4, s54, s26
	s_addc_u32 s5, s55, s27
	s_add_u32 s4, s4, s28
	s_addc_u32 s5, s5, s29
	s_and_saveexec_b32 s10, s9
	s_cbranch_execnz .LBB4_72
; %bb.65:
	s_or_b32 exec_lo, exec_lo, s10
	s_and_saveexec_b32 s9, s11
	s_cbranch_execnz .LBB4_73
.LBB4_66:
	s_or_b32 exec_lo, exec_lo, s9
	s_and_saveexec_b32 s9, s12
	s_cbranch_execnz .LBB4_74
.LBB4_67:
	s_or_b32 exec_lo, exec_lo, s9
	s_and_saveexec_b32 s9, s13
	s_cbranch_execz .LBB4_69
.LBB4_68:
	v_add_co_u32 v3, vcc_lo, s6, v1
	v_add_co_ci_u32_e64 v4, null, s8, v2, vcc_lo
	global_load_dword v3, v[3:4], off offset:12
	s_waitcnt vmcnt(0)
	v_mul_f32_e32 v4, 0xbfb8aa3b, v3
	v_exp_f32_e32 v4, v4
	v_add_f32_e32 v4, 1.0, v4
	v_div_scale_f32 v5, null, v4, v4, v3
	v_div_scale_f32 v8, vcc_lo, v3, v4, v3
	v_rcp_f32_e32 v6, v5
	v_fma_f32 v7, -v5, v6, 1.0
	v_fmac_f32_e32 v6, v7, v6
	v_mul_f32_e32 v7, v8, v6
	v_fma_f32 v9, -v5, v7, v8
	v_fmac_f32_e32 v7, v9, v6
	v_fma_f32 v5, -v5, v7, v8
	v_div_fmas_f32 v5, v5, v6, v7
	v_add_co_u32 v1, vcc_lo, s4, v1
	v_add_co_ci_u32_e64 v2, null, s5, v2, vcc_lo
	v_div_fixup_f32 v3, v5, v4, v3
	v_mul_f32_e32 v3, v10, v3
	global_store_dword v[1:2], v3, off offset:12
.LBB4_69:
	s_or_b32 exec_lo, exec_lo, s9
	s_add_i32 s25, s25, -1
	v_cmp_gt_u32_e32 vcc_lo, 8, v0
	s_cmp_eq_u32 s7, s25
	s_cselect_b32 s4, -1, 0
	s_and_b32 s4, s4, vcc_lo
	s_and_saveexec_b32 s5, s4
	s_cbranch_execz .LBB4_71
; %bb.70:
	v_lshl_add_u32 v1, v0, 2, 0
	v_add_nc_u32_e32 v0, s30, v0
	ds_read_b32 v2, v1 offset:36928
	v_ashrrev_i32_e32 v1, 31, v0
	v_lshlrev_b64 v[0:1], 2, v[0:1]
	v_add_co_u32 v0, vcc_lo, s52, v0
	v_add_co_ci_u32_e64 v1, null, s53, v1, vcc_lo
	s_waitcnt lgkmcnt(0)
	global_store_dword v[0:1], v2, off
.LBB4_71:
	s_endpgm
.LBB4_72:
	v_add_co_u32 v3, vcc_lo, s6, v1
	v_add_co_ci_u32_e64 v4, null, s8, v2, vcc_lo
	global_load_dword v3, v[3:4], off
	s_waitcnt vmcnt(0)
	v_mul_f32_e32 v4, 0xbfb8aa3b, v3
	v_exp_f32_e32 v4, v4
	v_add_f32_e32 v4, 1.0, v4
	v_div_scale_f32 v5, null, v4, v4, v3
	v_div_scale_f32 v8, vcc_lo, v3, v4, v3
	v_rcp_f32_e32 v6, v5
	v_fma_f32 v7, -v5, v6, 1.0
	v_fmac_f32_e32 v6, v7, v6
	v_mul_f32_e32 v7, v8, v6
	v_fma_f32 v9, -v5, v7, v8
	v_fmac_f32_e32 v7, v9, v6
	v_fma_f32 v5, -v5, v7, v8
	v_div_fmas_f32 v5, v5, v6, v7
	v_div_fixup_f32 v3, v5, v4, v3
	v_mul_f32_e32 v5, v14, v3
	v_add_co_u32 v3, vcc_lo, s4, v1
	v_add_co_ci_u32_e64 v4, null, s5, v2, vcc_lo
	global_store_dword v[3:4], v5, off
	s_or_b32 exec_lo, exec_lo, s10
	s_and_saveexec_b32 s9, s11
	s_cbranch_execz .LBB4_66
.LBB4_73:
	v_add_co_u32 v3, vcc_lo, s6, v1
	v_add_co_ci_u32_e64 v4, null, s8, v2, vcc_lo
	global_load_dword v3, v[3:4], off offset:4
	s_waitcnt vmcnt(0)
	v_mul_f32_e32 v4, 0xbfb8aa3b, v3
	v_exp_f32_e32 v4, v4
	v_add_f32_e32 v4, 1.0, v4
	v_div_scale_f32 v5, null, v4, v4, v3
	v_div_scale_f32 v8, vcc_lo, v3, v4, v3
	v_rcp_f32_e32 v6, v5
	v_fma_f32 v7, -v5, v6, 1.0
	v_fmac_f32_e32 v6, v7, v6
	v_mul_f32_e32 v7, v8, v6
	v_fma_f32 v9, -v5, v7, v8
	v_fmac_f32_e32 v7, v9, v6
	v_fma_f32 v5, -v5, v7, v8
	v_div_fmas_f32 v5, v5, v6, v7
	v_div_fixup_f32 v3, v5, v4, v3
	v_mul_f32_e32 v5, v12, v3
	v_add_co_u32 v3, vcc_lo, s4, v1
	v_add_co_ci_u32_e64 v4, null, s5, v2, vcc_lo
	global_store_dword v[3:4], v5, off offset:4
	s_or_b32 exec_lo, exec_lo, s9
	s_and_saveexec_b32 s9, s12
	s_cbranch_execz .LBB4_67
.LBB4_74:
	v_add_co_u32 v3, vcc_lo, s6, v1
	v_add_co_ci_u32_e64 v4, null, s8, v2, vcc_lo
	global_load_dword v3, v[3:4], off offset:8
	s_waitcnt vmcnt(0)
	v_mul_f32_e32 v4, 0xbfb8aa3b, v3
	v_exp_f32_e32 v4, v4
	v_add_f32_e32 v4, 1.0, v4
	v_div_scale_f32 v5, null, v4, v4, v3
	v_div_scale_f32 v8, vcc_lo, v3, v4, v3
	v_rcp_f32_e32 v6, v5
	v_fma_f32 v7, -v5, v6, 1.0
	v_fmac_f32_e32 v6, v7, v6
	v_mul_f32_e32 v7, v8, v6
	v_fma_f32 v9, -v5, v7, v8
	v_fmac_f32_e32 v7, v9, v6
	v_fma_f32 v5, -v5, v7, v8
	v_div_fmas_f32 v5, v5, v6, v7
	v_div_fixup_f32 v3, v5, v4, v3
	v_mul_f32_e32 v5, v11, v3
	v_add_co_u32 v3, vcc_lo, s4, v1
	v_add_co_ci_u32_e64 v4, null, s5, v2, vcc_lo
	global_store_dword v[3:4], v5, off offset:8
	s_or_b32 exec_lo, exec_lo, s9
	s_and_saveexec_b32 s9, s13
	s_cbranch_execnz .LBB4_68
	s_branch .LBB4_69
	.section	.rodata,"a",@progbits
	.p2align	6, 0x0
	.amdhsa_kernel _Z26selective_scan_vllm_kernelI18SSMFwdKernelTraitsILi128ELi4ELi8ELb1ELb0ELb0EEEv13SSMParamsBase
		.amdhsa_group_segment_fixed_size 0
		.amdhsa_private_segment_fixed_size 48
		.amdhsa_kernarg_size 144
		.amdhsa_user_sgpr_count 6
		.amdhsa_user_sgpr_private_segment_buffer 1
		.amdhsa_user_sgpr_dispatch_ptr 0
		.amdhsa_user_sgpr_queue_ptr 0
		.amdhsa_user_sgpr_kernarg_segment_ptr 1
		.amdhsa_user_sgpr_dispatch_id 0
		.amdhsa_user_sgpr_flat_scratch_init 0
		.amdhsa_user_sgpr_private_segment_size 0
		.amdhsa_wavefront_size32 1
		.amdhsa_uses_dynamic_stack 0
		.amdhsa_system_sgpr_private_segment_wavefront_offset 1
		.amdhsa_system_sgpr_workgroup_id_x 1
		.amdhsa_system_sgpr_workgroup_id_y 1
		.amdhsa_system_sgpr_workgroup_id_z 0
		.amdhsa_system_sgpr_workgroup_info 0
		.amdhsa_system_vgpr_workitem_id 0
		.amdhsa_next_free_vgpr 38
		.amdhsa_next_free_sgpr 62
		.amdhsa_reserve_vcc 1
		.amdhsa_reserve_flat_scratch 0
		.amdhsa_float_round_mode_32 0
		.amdhsa_float_round_mode_16_64 0
		.amdhsa_float_denorm_mode_32 3
		.amdhsa_float_denorm_mode_16_64 3
		.amdhsa_dx10_clamp 1
		.amdhsa_ieee_mode 1
		.amdhsa_fp16_overflow 0
		.amdhsa_workgroup_processor_mode 1
		.amdhsa_memory_ordered 1
		.amdhsa_forward_progress 1
		.amdhsa_shared_vgpr_count 0
		.amdhsa_exception_fp_ieee_invalid_op 0
		.amdhsa_exception_fp_denorm_src 0
		.amdhsa_exception_fp_ieee_div_zero 0
		.amdhsa_exception_fp_ieee_overflow 0
		.amdhsa_exception_fp_ieee_underflow 0
		.amdhsa_exception_fp_ieee_inexact 0
		.amdhsa_exception_int_div_zero 0
	.end_amdhsa_kernel
	.section	.text._Z26selective_scan_vllm_kernelI18SSMFwdKernelTraitsILi128ELi4ELi8ELb1ELb0ELb0EEEv13SSMParamsBase,"axG",@progbits,_Z26selective_scan_vllm_kernelI18SSMFwdKernelTraitsILi128ELi4ELi8ELb1ELb0ELb0EEEv13SSMParamsBase,comdat
.Lfunc_end4:
	.size	_Z26selective_scan_vllm_kernelI18SSMFwdKernelTraitsILi128ELi4ELi8ELb1ELb0ELb0EEEv13SSMParamsBase, .Lfunc_end4-_Z26selective_scan_vllm_kernelI18SSMFwdKernelTraitsILi128ELi4ELi8ELb1ELb0ELb0EEEv13SSMParamsBase
                                        ; -- End function
	.set _Z26selective_scan_vllm_kernelI18SSMFwdKernelTraitsILi128ELi4ELi8ELb1ELb0ELb0EEEv13SSMParamsBase.num_vgpr, 38
	.set _Z26selective_scan_vllm_kernelI18SSMFwdKernelTraitsILi128ELi4ELi8ELb1ELb0ELb0EEEv13SSMParamsBase.num_agpr, 0
	.set _Z26selective_scan_vllm_kernelI18SSMFwdKernelTraitsILi128ELi4ELi8ELb1ELb0ELb0EEEv13SSMParamsBase.numbered_sgpr, 62
	.set _Z26selective_scan_vllm_kernelI18SSMFwdKernelTraitsILi128ELi4ELi8ELb1ELb0ELb0EEEv13SSMParamsBase.num_named_barrier, 0
	.set _Z26selective_scan_vllm_kernelI18SSMFwdKernelTraitsILi128ELi4ELi8ELb1ELb0ELb0EEEv13SSMParamsBase.private_seg_size, 48
	.set _Z26selective_scan_vllm_kernelI18SSMFwdKernelTraitsILi128ELi4ELi8ELb1ELb0ELb0EEEv13SSMParamsBase.uses_vcc, 1
	.set _Z26selective_scan_vllm_kernelI18SSMFwdKernelTraitsILi128ELi4ELi8ELb1ELb0ELb0EEEv13SSMParamsBase.uses_flat_scratch, 0
	.set _Z26selective_scan_vllm_kernelI18SSMFwdKernelTraitsILi128ELi4ELi8ELb1ELb0ELb0EEEv13SSMParamsBase.has_dyn_sized_stack, 0
	.set _Z26selective_scan_vllm_kernelI18SSMFwdKernelTraitsILi128ELi4ELi8ELb1ELb0ELb0EEEv13SSMParamsBase.has_recursion, 0
	.set _Z26selective_scan_vllm_kernelI18SSMFwdKernelTraitsILi128ELi4ELi8ELb1ELb0ELb0EEEv13SSMParamsBase.has_indirect_call, 0
	.section	.AMDGPU.csdata,"",@progbits
; Kernel info:
; codeLenInByte = 3872
; TotalNumSgprs: 64
; NumVgprs: 38
; ScratchSize: 48
; MemoryBound: 0
; FloatMode: 240
; IeeeMode: 1
; LDSByteSize: 0 bytes/workgroup (compile time only)
; SGPRBlocks: 0
; VGPRBlocks: 4
; NumSGPRsForWavesPerEU: 64
; NumVGPRsForWavesPerEU: 38
; Occupancy: 16
; WaveLimiterHint : 0
; COMPUTE_PGM_RSRC2:SCRATCH_EN: 1
; COMPUTE_PGM_RSRC2:USER_SGPR: 6
; COMPUTE_PGM_RSRC2:TRAP_HANDLER: 0
; COMPUTE_PGM_RSRC2:TGID_X_EN: 1
; COMPUTE_PGM_RSRC2:TGID_Y_EN: 1
; COMPUTE_PGM_RSRC2:TGID_Z_EN: 0
; COMPUTE_PGM_RSRC2:TIDIG_COMP_CNT: 0
	.section	.text._Z26selective_scan_vllm_kernelI18SSMFwdKernelTraitsILi128ELi4ELi8ELb0ELb1ELb1EEEv13SSMParamsBase,"axG",@progbits,_Z26selective_scan_vllm_kernelI18SSMFwdKernelTraitsILi128ELi4ELi8ELb0ELb1ELb1EEEv13SSMParamsBase,comdat
	.protected	_Z26selective_scan_vllm_kernelI18SSMFwdKernelTraitsILi128ELi4ELi8ELb0ELb1ELb1EEEv13SSMParamsBase ; -- Begin function _Z26selective_scan_vllm_kernelI18SSMFwdKernelTraitsILi128ELi4ELi8ELb0ELb1ELb1EEEv13SSMParamsBase
	.globl	_Z26selective_scan_vllm_kernelI18SSMFwdKernelTraitsILi128ELi4ELi8ELb0ELb1ELb1EEEv13SSMParamsBase
	.p2align	8
	.type	_Z26selective_scan_vllm_kernelI18SSMFwdKernelTraitsILi128ELi4ELi8ELb0ELb1ELb1EEEv13SSMParamsBase,@function
_Z26selective_scan_vllm_kernelI18SSMFwdKernelTraitsILi128ELi4ELi8ELb0ELb1ELb1EEEv13SSMParamsBase: ; @_Z26selective_scan_vllm_kernelI18SSMFwdKernelTraitsILi128ELi4ELi8ELb0ELb1ELb1EEEv13SSMParamsBase
; %bb.0:
	s_clause 0x1
	s_load_dword s10, s[4:5], 0x4
	s_load_dword s33, s[4:5], 0x10
	s_add_u32 s0, s0, s8
	s_addc_u32 s1, s1, 0
	s_clause 0x5
	s_load_dwordx4 s[44:47], s[4:5], 0x38
	s_load_dwordx2 s[8:9], s[4:5], 0x48
	s_load_dwordx8 s[24:31], s[4:5], 0x58
	s_load_dwordx2 s[48:49], s[4:5], 0x88
	s_load_dwordx4 s[20:23], s[4:5], 0x78
	s_load_dwordx8 s[36:43], s[4:5], 0x18
	v_cmp_eq_u32_e64 s5, 0, v0
	s_abs_i32 s14, s6
	s_ashr_i32 s13, s6, 31
	s_mov_b32 s52, 0
	s_waitcnt lgkmcnt(0)
	s_abs_i32 s11, s10
	s_ashr_i32 s15, s10, 31
	v_cvt_f32_u32_e32 v1, s11
	s_sub_i32 s4, 0, s11
	v_rcp_iflag_f32_e32 v1, v1
	v_mul_f32_e32 v1, 0x4f7ffffe, v1
	v_cvt_u32_f32_e32 v1, v1
	v_readfirstlane_b32 s12, v1
	s_mul_i32 s4, s4, s12
	s_mul_hi_u32 s16, s12, s4
	v_cmp_ne_u32_e64 s4, 0, v0
	s_add_i32 s12, s12, s16
	s_mul_hi_u32 s12, s14, s12
	s_and_saveexec_b32 s16, s5
	s_cbranch_execz .LBB5_2
; %bb.1:
	v_mov_b32_e32 v1, 0x7f
	v_mov_b32_e32 v2, 3
	;; [unrolled: 1-line block ×3, first 2 shown]
	ds_write_b64 v3, v[1:2] offset:36960
.LBB5_2:
	s_or_b32 exec_lo, exec_lo, s16
	s_mul_i32 s16, s12, s11
	s_xor_b32 s13, s13, s15
	s_sub_i32 s14, s14, s16
	s_add_i32 s15, s12, 1
	s_sub_i32 s16, s14, s11
	s_cmp_ge_u32 s14, s11
	v_lshlrev_b32_e32 v13, 2, v0
	s_cselect_b32 s12, s15, s12
	s_cselect_b32 s14, s16, s14
	s_add_i32 s15, s12, 1
	s_cmp_ge_u32 s14, s11
	s_waitcnt lgkmcnt(0)
	s_cselect_b32 s11, s15, s12
	s_lshl_b32 s53, s7, 9
	s_xor_b32 s11, s11, s13
	v_or_b32_e32 v1, s53, v13
	s_sub_i32 s54, s11, s13
	s_barrier
	s_mul_i32 s12, s54, s10
	s_mul_i32 s10, s54, s20
	s_sub_i32 s50, s6, s12
	s_ashr_i32 s11, s10, 31
	v_ashrrev_i32_e32 v2, 31, v1
	s_lshl_b64 s[34:35], s[10:11], 2
	s_mul_i32 s10, s50, s21
	s_add_u32 s12, s36, s34
	s_addc_u32 s13, s37, s35
	s_ashr_i32 s11, s10, 31
	v_lshlrev_b64 v[5:6], 2, v[1:2]
	s_lshl_b64 s[36:37], s[10:11], 2
	buffer_gl0_inv
	s_add_u32 s10, s12, s36
	s_addc_u32 s11, s13, s37
	s_add_u32 s12, s38, s34
	s_addc_u32 s13, s39, s35
	;; [unrolled: 2-line block ×3, first 2 shown]
	v_add_co_u32 v1, vcc_lo, s12, v5
	v_add_co_ci_u32_e64 v2, null, s13, v6, vcc_lo
	v_add_co_u32 v7, vcc_lo, s10, v5
	v_add_co_ci_u32_e64 v8, null, s11, v6, vcc_lo
	global_load_dwordx4 v[1:4], v[1:2], off
	s_ashr_i32 s51, s50, 31
	v_or_b32_e32 v18, 31, v0
	global_load_dwordx4 v[7:10], v[7:8], off
	s_lshl_b64 s[38:39], s[50:51], 2
	v_mbcnt_lo_u32_b32 v19, -1, 0
	s_add_u32 s8, s8, s38
	s_addc_u32 s9, s9, s39
	s_mul_i32 s51, s6, s33
	s_load_dword s10, s[8:9], 0x0
	v_cmp_eq_u32_e64 s9, v0, v18
	v_and_b32_e32 v22, 15, v19
	v_lshlrev_b32_e32 v21, 3, v0
	v_and_b32_e32 v23, 16, v19
	v_lshrrev_b32_e32 v20, 2, v0
	v_mov_b32_e32 v14, 0
	v_cmp_ne_u32_e64 s11, 0, v22
	v_cmp_lt_u32_e64 s12, 1, v22
	v_cmp_lt_u32_e64 s13, 3, v22
	;; [unrolled: 1-line block ×3, first 2 shown]
	v_sub_nc_u32_e32 v29, 0, v21
	v_and_b32_e32 v21, 3, v19
	v_cmp_ne_u32_e64 s15, 0, v23
	v_and_b32_e32 v20, 24, v20
	v_lshl_add_u32 v15, v0, 4, 0
	ds_read_b64 v[11:12], v14 offset:36960
	v_cmp_lt_u32_e64 s17, 1, v21
	v_cmp_gt_u32_e64 s19, 4, v0
	v_cmp_lt_u32_e64 s8, 31, v0
	v_add_nc_u32_e32 v16, 0x820, v15
	v_add_nc_u32_e32 v17, 0x828, v15
	s_waitcnt vmcnt(1) lgkmcnt(0)
	v_add_f32_e32 v1, s10, v1
	v_add_f32_e32 v2, s10, v2
	v_add_f32_e32 v3, s10, v3
	v_add_f32_e32 v4, s10, v4
	v_sub_co_u32 v24, s10, v19, 1
	v_mul_f32_e32 v18, 0x3fb8aa3b, v1
	v_mul_f32_e32 v25, 0x3fb8aa3b, v2
	;; [unrolled: 1-line block ×4, first 2 shown]
	v_cmp_gt_i32_e64 s16, 0, v24
	v_exp_f32_e32 v28, v18
	v_exp_f32_e32 v25, v25
	v_exp_f32_e32 v26, v26
	v_exp_f32_e32 v27, v27
	v_cndmask_b32_e64 v24, v24, v19, s16
	v_cmp_ne_u32_e64 s16, 0, v21
	v_add_nc_u32_e32 v19, 0, v20
	v_add_nc_u32_e32 v18, 0x1020, v15
	v_add_f32_e32 v28, 1.0, v28
	v_add_f32_e32 v25, 1.0, v25
	;; [unrolled: 1-line block ×4, first 2 shown]
	v_cmp_gt_f32_e32 vcc_lo, 0x800000, v28
	v_cmp_gt_f32_e64 s6, 0x800000, v25
	v_cmp_gt_f32_e64 s18, 0x800000, v26
	;; [unrolled: 1-line block ×3, first 2 shown]
	v_cndmask_b32_e64 v30, 0, 32, vcc_lo
	v_cndmask_b32_e64 v31, 0, 32, s6
	v_cndmask_b32_e64 v32, 0, 32, s18
	;; [unrolled: 1-line block ×3, first 2 shown]
	v_cndmask_b32_e64 v20, 0, 0x41b17218, vcc_lo
	v_ldexp_f32 v22, v28, v30
	v_ldexp_f32 v25, v25, v31
	;; [unrolled: 1-line block ×4, first 2 shown]
	v_cndmask_b32_e64 v31, 0, 0x41b17218, s6
	v_log_f32_e32 v22, v22
	v_log_f32_e32 v23, v25
	;; [unrolled: 1-line block ×4, first 2 shown]
	v_cndmask_b32_e64 v32, 0, 0x41b17218, s18
	v_cndmask_b32_e64 v33, 0, 0x41b17218, s20
	s_add_u32 s20, s46, s38
	s_addc_u32 s21, s47, s39
	s_mul_i32 s6, s54, s22
	s_mul_i32 s54, s54, s48
	v_mul_f32_e32 v21, 0x3f317217, v22
	v_mul_f32_e32 v27, 0x3f317217, v23
	v_mul_f32_e32 v28, 0x3f317217, v25
	v_mul_f32_e32 v30, 0x3f317217, v26
	v_cmp_gt_f32_e64 vcc_lo, 0x7f800000, |v22|
	v_fma_f32 v21, 0x3f317217, v22, -v21
	v_fma_f32 v27, 0x3f317217, v23, -v27
	;; [unrolled: 1-line block ×4, first 2 shown]
	v_cmp_eq_u32_e64 s18, v0, v11
	v_fmac_f32_e32 v21, 0x3377d1cf, v22
	v_fmac_f32_e32 v27, 0x3377d1cf, v23
	;; [unrolled: 1-line block ×4, first 2 shown]
	s_mov_b32 s48, 0
	v_fmac_f32_e32 v21, 0x3f317217, v22
	v_fmac_f32_e32 v27, 0x3f317217, v23
	;; [unrolled: 1-line block ×4, first 2 shown]
	v_cndmask_b32_e32 v21, v22, v21, vcc_lo
	v_cmp_gt_f32_e64 vcc_lo, 0x7f800000, |v23|
	v_sub_f32_e32 v20, v21, v20
	v_cndmask_b32_e32 v22, v23, v27, vcc_lo
	v_cmp_gt_f32_e64 vcc_lo, 0x7f800000, |v25|
	v_sub_f32_e32 v21, v22, v31
	;; [unrolled: 3-line block ×3, first 2 shown]
	v_cndmask_b32_e32 v25, v26, v30, vcc_lo
	v_cmp_lt_f32_e32 vcc_lo, 0x41a00000, v1
	v_sub_f32_e32 v23, v25, v33
	v_cndmask_b32_e32 v1, v20, v1, vcc_lo
	v_cmp_lt_f32_e32 vcc_lo, 0x41a00000, v2
	v_lshlrev_b32_e32 v20, 2, v24
	v_cndmask_b32_e32 v2, v21, v2, vcc_lo
	v_cmp_lt_f32_e32 vcc_lo, 0x41a00000, v3
	v_add_nc_u32_e32 v21, -8, v19
	v_cndmask_b32_e32 v3, v22, v3, vcc_lo
	v_cmp_lt_f32_e32 vcc_lo, 0x41a00000, v4
	v_cndmask_b32_e32 v4, v23, v4, vcc_lo
	s_waitcnt vmcnt(0)
	ds_write2_b32 v15, v7, v8 offset0:8 offset1:9
	ds_write2_b32 v15, v9, v10 offset0:10 offset1:11
	ds_write2_b32 v16, v1, v2 offset1:1
	ds_write2_b32 v17, v3, v4 offset1:1
	s_waitcnt lgkmcnt(0)
	s_barrier
	buffer_gl0_inv
	s_load_dword s38, s[20:21], 0x0
	ds_read2_b32 v[1:2], v15 offset0:8 offset1:9
	ds_read2_b32 v[3:4], v15 offset0:10 offset1:11
	v_lshlrev_b32_e32 v8, 3, v12
	s_lshl_b32 s20, s50, 3
	s_cmp_lg_u32 s7, 0
	v_add3_u32 v7, s6, s53, v13
	s_cselect_b32 s22, -1, 0
	s_ashr_i32 s21, s20, 31
	s_mul_i32 s6, s50, s49
	v_mov_b32_e32 v22, v8
	s_lshl_b64 s[20:21], s[20:21], 2
	v_add_nc_u32_e32 v23, v15, v29
	s_add_i32 s6, s6, s54
	s_ashr_i32 s46, s7, 31
	s_lshl_b32 s47, s51, 3
	s_add_u32 s20, s40, s20
	s_addc_u32 s21, s41, s21
	s_waitcnt lgkmcnt(0)
	v_mul_f32_e32 v1, s38, v1
	v_mul_f32_e32 v2, s38, v2
	;; [unrolled: 1-line block ×4, first 2 shown]
	s_mov_b32 s38, s6
	s_branch .LBB5_4
.LBB5_3:                                ;   in Loop: Header=BB5_4 Depth=1
	s_or_b32 exec_lo, exec_lo, s39
	v_fmac_f32_e32 v24, v9, v27
	v_fmac_f32_e32 v28, v9, v26
	;; [unrolled: 1-line block ×4, first 2 shown]
	s_addk_i32 s48, 0x800
	s_waitcnt lgkmcnt(1)
	v_fmac_f32_e32 v1, v12, v24
	v_fmac_f32_e32 v2, v13, v28
	s_waitcnt lgkmcnt(0)
	v_fmac_f32_e32 v3, v10, v30
	v_fmac_f32_e32 v4, v11, v31
	s_add_i32 s52, s52, 4
	v_add_nc_u32_e32 v7, s23, v7
	s_add_i32 s38, s38, 1
	s_add_i32 s47, s47, s33
	s_add_u32 s20, s20, 4
	s_addc_u32 s21, s21, 0
	s_cmpk_eq_i32 s48, 0x4000
	s_waitcnt_vscnt null, 0x0
	s_barrier
	buffer_gl0_inv
	s_cbranch_scc1 .LBB5_32
.LBB5_4:                                ; =>This Inner Loop Header: Depth=1
	s_and_saveexec_b32 s49, s5
	s_cbranch_execz .LBB5_9
; %bb.5:                                ;   in Loop: Header=BB5_4 Depth=1
	s_and_b32 vcc_lo, exec_lo, s22
	s_cbranch_vccz .LBB5_31
; %bb.6:                                ;   in Loop: Header=BB5_4 Depth=1
	s_ashr_i32 s39, s47, 31
	s_add_u32 s40, s7, s47
	s_addc_u32 s41, s46, s39
	s_lshl_b64 s[40:41], s[40:41], 2
	s_add_u32 s50, s28, s40
	s_addc_u32 s51, s29, s41
	s_add_u32 s39, s30, s40
	global_load_dword v8, v14, s[50:51] offset:-4
	s_addc_u32 s41, s31, s41
	s_add_u32 s40, s39, -4
	s_addc_u32 s41, s41, -1
	s_cbranch_execnz .LBB5_8
.LBB5_7:                                ;   in Loop: Header=BB5_4 Depth=1
	s_ashr_i32 s39, s38, 31
	s_waitcnt vmcnt(0)
	v_mov_b32_e32 v8, 1.0
	s_lshl_b64 s[40:41], s[38:39], 2
	s_add_u32 s40, s24, s40
	s_addc_u32 s41, s25, s41
.LBB5_8:                                ;   in Loop: Header=BB5_4 Depth=1
	global_load_dword v9, v14, s[40:41]
	v_add_nc_u32_e64 v10, 0x9000, s52
	s_waitcnt vmcnt(0)
	ds_write2_b32 v10, v8, v9 offset0:8 offset1:16
.LBB5_9:                                ;   in Loop: Header=BB5_4 Depth=1
	s_or_b32 exec_lo, exec_lo, s49
	v_ashrrev_i32_e32 v8, 31, v7
	v_add_nc_u32_e64 v36, 0x9000, s52
	v_lshlrev_b64 v[8:9], 2, v[7:8]
	v_add_co_u32 v10, vcc_lo, s42, v8
	v_add_co_ci_u32_e64 v11, null, s43, v9, vcc_lo
	v_add_co_u32 v12, vcc_lo, s44, v8
	v_add_co_ci_u32_e64 v13, null, s45, v9, vcc_lo
	global_load_dwordx4 v[8:11], v[10:11], off
	global_load_dwordx4 v[26:29], v[12:13], off
	v_add_nc_u32_e32 v13, s48, v18
	v_add_nc_u32_e32 v12, 0x4000, v13
	v_add_nc_u32_e32 v25, 0x4008, v13
	s_waitcnt vmcnt(1)
	ds_write2_b32 v13, v8, v9 offset1:1
	s_waitcnt vmcnt(0)
	ds_write2_b32 v12, v26, v27 offset1:1
	ds_write2_b32 v13, v10, v11 offset0:2 offset1:3
	ds_write2_b32 v25, v28, v29 offset1:1
	s_waitcnt lgkmcnt(0)
	s_barrier
	buffer_gl0_inv
	global_load_dword v24, v14, s[20:21]
	ds_read2_b32 v[8:9], v16 offset1:1
	ds_read2_b32 v[10:11], v13 offset0:2 offset1:3
	ds_read2_b32 v[28:29], v17 offset1:1
	ds_read2_b32 v[30:31], v13 offset1:1
	ds_read2_b32 v[32:33], v15 offset0:8 offset1:9
	ds_read2_b32 v[38:39], v15 offset0:10 offset1:11
	s_waitcnt lgkmcnt(3)
	v_mul_f32_e32 v10, v28, v10
	v_mul_f32_e32 v11, v29, v11
	s_waitcnt vmcnt(0)
	v_mul_f32_e32 v13, v8, v24
	v_mul_f32_e32 v26, v9, v24
	;; [unrolled: 1-line block ×3, first 2 shown]
	s_waitcnt lgkmcnt(2)
	v_mul_f32_e32 v8, v8, v30
	v_mul_f32_e32 v30, v29, v24
	;; [unrolled: 1-line block ×6, first 2 shown]
	s_waitcnt lgkmcnt(1)
	v_mul_f32_e32 v24, v32, v8
	v_exp_f32_e32 v27, v13
	v_exp_f32_e32 v35, v26
	v_mul_f32_e32 v8, 0x3fb8aa3b, v30
	v_exp_f32_e32 v37, v34
	v_mul_f32_e32 v13, v33, v9
	s_waitcnt lgkmcnt(0)
	v_mul_f32_e32 v33, v38, v10
	v_exp_f32_e32 v34, v8
	ds_read2_b32 v[8:9], v36 offset0:8 offset1:16
	v_mul_f32_e32 v36, v39, v11
	v_mul_f32_e32 v26, v27, v35
	v_fma_f32 v28, v24, v35, v13
	v_mul_f32_e32 v29, v26, v37
	v_fma_f32 v30, v28, v37, v33
	;; [unrolled: 2-line block ×3, first 2 shown]
	v_mov_b32_dpp v10, v32 row_shr:1 row_mask:0xf bank_mask:0xf
	v_mov_b32_dpp v11, v31 row_shr:1 row_mask:0xf bank_mask:0xf
	v_mov_b32_e32 v38, v31
	v_mov_b32_e32 v39, v32
	s_and_saveexec_b32 s39, s11
; %bb.10:                               ;   in Loop: Header=BB5_4 Depth=1
	v_mov_b32_e32 v38, v31
	v_mul_f32_e32 v39, v32, v10
	v_fmac_f32_e32 v38, v32, v11
; %bb.11:                               ;   in Loop: Header=BB5_4 Depth=1
	s_or_b32 exec_lo, exec_lo, s39
	v_mov_b32_dpp v11, v39 row_shr:2 row_mask:0xf bank_mask:0xf
	v_mov_b32_dpp v10, v38 row_shr:2 row_mask:0xf bank_mask:0xf
	s_and_saveexec_b32 s39, s12
; %bb.12:                               ;   in Loop: Header=BB5_4 Depth=1
	v_mul_f32_e32 v11, v39, v11
	v_fmac_f32_e32 v38, v39, v10
	v_mov_b32_e32 v39, v11
; %bb.13:                               ;   in Loop: Header=BB5_4 Depth=1
	s_or_b32 exec_lo, exec_lo, s39
	v_mov_b32_dpp v11, v39 row_shr:4 row_mask:0xf bank_mask:0xf
	v_mov_b32_dpp v10, v38 row_shr:4 row_mask:0xf bank_mask:0xf
	s_and_saveexec_b32 s39, s13
; %bb.14:                               ;   in Loop: Header=BB5_4 Depth=1
	v_mul_f32_e32 v11, v39, v11
	v_fmac_f32_e32 v38, v39, v10
	v_mov_b32_e32 v39, v11
	;; [unrolled: 9-line block ×3, first 2 shown]
; %bb.17:                               ;   in Loop: Header=BB5_4 Depth=1
	s_or_b32 exec_lo, exec_lo, s39
	ds_swizzle_b32 v10, v39 offset:swizzle(BROADCAST,32,15)
	ds_swizzle_b32 v11, v38 offset:swizzle(BROADCAST,32,15)
	s_and_saveexec_b32 s39, s15
	s_cbranch_execz .LBB5_19
; %bb.18:                               ;   in Loop: Header=BB5_4 Depth=1
	s_waitcnt lgkmcnt(0)
	v_fmac_f32_e32 v38, v39, v11
	v_mul_f32_e32 v39, v39, v10
.LBB5_19:                               ;   in Loop: Header=BB5_4 Depth=1
	s_or_b32 exec_lo, exec_lo, s39
	s_and_saveexec_b32 s39, s9
; %bb.20:                               ;   in Loop: Header=BB5_4 Depth=1
	ds_write2_b32 v19, v39, v38 offset1:1
; %bb.21:                               ;   in Loop: Header=BB5_4 Depth=1
	s_or_b32 exec_lo, exec_lo, s39
	s_waitcnt lgkmcnt(0)
	s_barrier
	buffer_gl0_inv
	s_and_saveexec_b32 s39, s19
	s_cbranch_execz .LBB5_25
; %bb.22:                               ;   in Loop: Header=BB5_4 Depth=1
	ds_read2_b32 v[10:11], v23 offset1:1
	s_waitcnt lgkmcnt(0)
	v_mov_b32_dpp v40, v10 row_shr:1 row_mask:0xf bank_mask:0xf
	v_mov_b32_dpp v41, v11 row_shr:1 row_mask:0xf bank_mask:0xf
	s_and_saveexec_b32 s40, s16
; %bb.23:                               ;   in Loop: Header=BB5_4 Depth=1
	v_fma_f32 v11, v10, v41, v11
	v_mul_f32_e32 v10, v10, v40
; %bb.24:                               ;   in Loop: Header=BB5_4 Depth=1
	s_or_b32 exec_lo, exec_lo, s40
	v_mov_b32_dpp v40, v10 row_shr:2 row_mask:0xf bank_mask:0xf
	v_mov_b32_dpp v41, v11 row_shr:2 row_mask:0xf bank_mask:0xf
	v_mul_f32_e32 v40, v10, v40
	v_fma_f32 v41, v10, v41, v11
	v_cndmask_b32_e64 v10, v10, v40, s17
	v_cndmask_b32_e64 v11, v11, v41, s17
	ds_write2_b32 v23, v10, v11 offset1:1
.LBB5_25:                               ;   in Loop: Header=BB5_4 Depth=1
	s_or_b32 exec_lo, exec_lo, s39
	s_waitcnt lgkmcnt(0)
	s_barrier
	buffer_gl0_inv
                                        ; implicit-def: $vgpr11
	s_and_saveexec_b32 s39, s8
	s_cbranch_execz .LBB5_27
; %bb.26:                               ;   in Loop: Header=BB5_4 Depth=1
	ds_read2_b32 v[10:11], v21 offset1:1
	s_waitcnt lgkmcnt(0)
	v_mul_f32_e32 v40, v39, v10
	v_fmac_f32_e32 v38, v39, v11
	v_mov_b32_e32 v39, v40
.LBB5_27:                               ;   in Loop: Header=BB5_4 Depth=1
	s_or_b32 exec_lo, exec_lo, s39
	ds_bpermute_b32 v39, v20, v39
	ds_bpermute_b32 v38, v20, v38
	s_and_saveexec_b32 s39, s4
	s_cbranch_execz .LBB5_29
; %bb.28:                               ;   in Loop: Header=BB5_4 Depth=1
	s_waitcnt lgkmcnt(0)
	v_cndmask_b32_e64 v11, v38, v11, s10
	v_cndmask_b32_e64 v10, v39, v10, s10
	;;#ASMSTART
	;;#ASMEND
	v_fmac_f32_e32 v24, v27, v11
	v_mul_f32_e32 v27, v27, v10
	v_fmac_f32_e32 v13, v24, v35
	v_mul_f32_e32 v26, v27, v35
	v_fmac_f32_e32 v33, v13, v37
	v_mul_f32_e32 v29, v26, v37
	v_mov_b32_e32 v28, v13
	v_fmac_f32_e32 v36, v33, v34
	v_mul_f32_e32 v32, v29, v34
	v_mov_b32_e32 v30, v33
	v_mov_b32_e32 v31, v36
.LBB5_29:                               ;   in Loop: Header=BB5_4 Depth=1
	s_or_b32 exec_lo, exec_lo, s39
	buffer_store_dword v27, off, s[0:3], 0
	buffer_store_dword v24, off, s[0:3], 0 offset:4
	buffer_store_dword v26, off, s[0:3], 0 offset:8
	;; [unrolled: 1-line block ×7, first 2 shown]
	s_waitcnt lgkmcnt(0)
	s_waitcnt_vscnt null, 0x0
	s_barrier
	buffer_gl0_inv
	ds_read2_b32 v[12:13], v12 offset1:1
	ds_read2_b32 v[10:11], v25 offset1:1
	s_and_saveexec_b32 s39, s18
	s_cbranch_execz .LBB5_3
; %bb.30:                               ;   in Loop: Header=BB5_4 Depth=1
	s_clause 0x1
	buffer_load_dword v25, v22, s[0:3], 0 offen
	buffer_load_dword v33, v22, s[0:3], 0 offen offset:4
	s_add_i32 s40, s7, s47
	v_add_nc_u32_e64 v34, 0x9000, s52
	s_ashr_i32 s41, s40, 31
	s_lshl_b64 s[40:41], s[40:41], 2
	s_add_u32 s50, s28, s40
	s_addc_u32 s51, s29, s41
	s_add_u32 s40, s30, s40
	s_addc_u32 s41, s31, s41
	s_waitcnt vmcnt(1)
	v_mul_f32_e32 v8, v8, v25
	s_waitcnt vmcnt(0)
	v_fmac_f32_e32 v33, v9, v25
	global_store_dword v14, v8, s[50:51]
	global_store_dword v14, v33, s[40:41]
	ds_write2_b32 v34, v8, v33 offset0:8 offset1:16
	s_branch .LBB5_3
.LBB5_31:                               ;   in Loop: Header=BB5_4 Depth=1
                                        ; implicit-def: $sgpr40_sgpr41
                                        ; implicit-def: $vgpr8
	s_branch .LBB5_7
.LBB5_32:
	s_add_u32 s4, s26, s34
	s_addc_u32 s5, s27, s35
	s_add_u32 s4, s4, s36
	s_addc_u32 s5, s5, s37
	v_add_co_u32 v5, vcc_lo, s4, v5
	s_add_i32 s33, s33, -1
	v_add_co_ci_u32_e64 v6, null, s5, v6, vcc_lo
	v_cmp_gt_u32_e32 vcc_lo, 8, v0
	s_cmp_eq_u32 s7, s33
	s_cselect_b32 s4, -1, 0
	global_store_dwordx4 v[5:6], v[1:4], off
	s_and_b32 s4, s4, vcc_lo
	s_and_saveexec_b32 s5, s4
	s_cbranch_execz .LBB5_34
; %bb.33:
	v_lshl_add_u32 v1, v0, 2, 0
	v_add_nc_u32_e32 v0, s6, v0
	ds_read_b32 v2, v1 offset:36928
	v_ashrrev_i32_e32 v1, 31, v0
	v_lshlrev_b64 v[0:1], 2, v[0:1]
	v_add_co_u32 v0, vcc_lo, s24, v0
	v_add_co_ci_u32_e64 v1, null, s25, v1, vcc_lo
	s_waitcnt lgkmcnt(0)
	global_store_dword v[0:1], v2, off
.LBB5_34:
	s_endpgm
	.section	.rodata,"a",@progbits
	.p2align	6, 0x0
	.amdhsa_kernel _Z26selective_scan_vllm_kernelI18SSMFwdKernelTraitsILi128ELi4ELi8ELb0ELb1ELb1EEEv13SSMParamsBase
		.amdhsa_group_segment_fixed_size 0
		.amdhsa_private_segment_fixed_size 48
		.amdhsa_kernarg_size 144
		.amdhsa_user_sgpr_count 6
		.amdhsa_user_sgpr_private_segment_buffer 1
		.amdhsa_user_sgpr_dispatch_ptr 0
		.amdhsa_user_sgpr_queue_ptr 0
		.amdhsa_user_sgpr_kernarg_segment_ptr 1
		.amdhsa_user_sgpr_dispatch_id 0
		.amdhsa_user_sgpr_flat_scratch_init 0
		.amdhsa_user_sgpr_private_segment_size 0
		.amdhsa_wavefront_size32 1
		.amdhsa_uses_dynamic_stack 0
		.amdhsa_system_sgpr_private_segment_wavefront_offset 1
		.amdhsa_system_sgpr_workgroup_id_x 1
		.amdhsa_system_sgpr_workgroup_id_y 1
		.amdhsa_system_sgpr_workgroup_id_z 0
		.amdhsa_system_sgpr_workgroup_info 0
		.amdhsa_system_vgpr_workitem_id 0
		.amdhsa_next_free_vgpr 42
		.amdhsa_next_free_sgpr 55
		.amdhsa_reserve_vcc 1
		.amdhsa_reserve_flat_scratch 0
		.amdhsa_float_round_mode_32 0
		.amdhsa_float_round_mode_16_64 0
		.amdhsa_float_denorm_mode_32 3
		.amdhsa_float_denorm_mode_16_64 3
		.amdhsa_dx10_clamp 1
		.amdhsa_ieee_mode 1
		.amdhsa_fp16_overflow 0
		.amdhsa_workgroup_processor_mode 1
		.amdhsa_memory_ordered 1
		.amdhsa_forward_progress 1
		.amdhsa_shared_vgpr_count 0
		.amdhsa_exception_fp_ieee_invalid_op 0
		.amdhsa_exception_fp_denorm_src 0
		.amdhsa_exception_fp_ieee_div_zero 0
		.amdhsa_exception_fp_ieee_overflow 0
		.amdhsa_exception_fp_ieee_underflow 0
		.amdhsa_exception_fp_ieee_inexact 0
		.amdhsa_exception_int_div_zero 0
	.end_amdhsa_kernel
	.section	.text._Z26selective_scan_vllm_kernelI18SSMFwdKernelTraitsILi128ELi4ELi8ELb0ELb1ELb1EEEv13SSMParamsBase,"axG",@progbits,_Z26selective_scan_vllm_kernelI18SSMFwdKernelTraitsILi128ELi4ELi8ELb0ELb1ELb1EEEv13SSMParamsBase,comdat
.Lfunc_end5:
	.size	_Z26selective_scan_vllm_kernelI18SSMFwdKernelTraitsILi128ELi4ELi8ELb0ELb1ELb1EEEv13SSMParamsBase, .Lfunc_end5-_Z26selective_scan_vllm_kernelI18SSMFwdKernelTraitsILi128ELi4ELi8ELb0ELb1ELb1EEEv13SSMParamsBase
                                        ; -- End function
	.set _Z26selective_scan_vllm_kernelI18SSMFwdKernelTraitsILi128ELi4ELi8ELb0ELb1ELb1EEEv13SSMParamsBase.num_vgpr, 42
	.set _Z26selective_scan_vllm_kernelI18SSMFwdKernelTraitsILi128ELi4ELi8ELb0ELb1ELb1EEEv13SSMParamsBase.num_agpr, 0
	.set _Z26selective_scan_vllm_kernelI18SSMFwdKernelTraitsILi128ELi4ELi8ELb0ELb1ELb1EEEv13SSMParamsBase.numbered_sgpr, 55
	.set _Z26selective_scan_vllm_kernelI18SSMFwdKernelTraitsILi128ELi4ELi8ELb0ELb1ELb1EEEv13SSMParamsBase.num_named_barrier, 0
	.set _Z26selective_scan_vllm_kernelI18SSMFwdKernelTraitsILi128ELi4ELi8ELb0ELb1ELb1EEEv13SSMParamsBase.private_seg_size, 48
	.set _Z26selective_scan_vllm_kernelI18SSMFwdKernelTraitsILi128ELi4ELi8ELb0ELb1ELb1EEEv13SSMParamsBase.uses_vcc, 1
	.set _Z26selective_scan_vllm_kernelI18SSMFwdKernelTraitsILi128ELi4ELi8ELb0ELb1ELb1EEEv13SSMParamsBase.uses_flat_scratch, 0
	.set _Z26selective_scan_vllm_kernelI18SSMFwdKernelTraitsILi128ELi4ELi8ELb0ELb1ELb1EEEv13SSMParamsBase.has_dyn_sized_stack, 0
	.set _Z26selective_scan_vllm_kernelI18SSMFwdKernelTraitsILi128ELi4ELi8ELb0ELb1ELb1EEEv13SSMParamsBase.has_recursion, 0
	.set _Z26selective_scan_vllm_kernelI18SSMFwdKernelTraitsILi128ELi4ELi8ELb0ELb1ELb1EEEv13SSMParamsBase.has_indirect_call, 0
	.section	.AMDGPU.csdata,"",@progbits
; Kernel info:
; codeLenInByte = 2772
; TotalNumSgprs: 57
; NumVgprs: 42
; ScratchSize: 48
; MemoryBound: 0
; FloatMode: 240
; IeeeMode: 1
; LDSByteSize: 0 bytes/workgroup (compile time only)
; SGPRBlocks: 0
; VGPRBlocks: 5
; NumSGPRsForWavesPerEU: 57
; NumVGPRsForWavesPerEU: 42
; Occupancy: 16
; WaveLimiterHint : 0
; COMPUTE_PGM_RSRC2:SCRATCH_EN: 1
; COMPUTE_PGM_RSRC2:USER_SGPR: 6
; COMPUTE_PGM_RSRC2:TRAP_HANDLER: 0
; COMPUTE_PGM_RSRC2:TGID_X_EN: 1
; COMPUTE_PGM_RSRC2:TGID_Y_EN: 1
; COMPUTE_PGM_RSRC2:TGID_Z_EN: 0
; COMPUTE_PGM_RSRC2:TIDIG_COMP_CNT: 0
	.section	.text._Z26selective_scan_vllm_kernelI18SSMFwdKernelTraitsILi128ELi4ELi8ELb0ELb1ELb0EEEv13SSMParamsBase,"axG",@progbits,_Z26selective_scan_vllm_kernelI18SSMFwdKernelTraitsILi128ELi4ELi8ELb0ELb1ELb0EEEv13SSMParamsBase,comdat
	.protected	_Z26selective_scan_vllm_kernelI18SSMFwdKernelTraitsILi128ELi4ELi8ELb0ELb1ELb0EEEv13SSMParamsBase ; -- Begin function _Z26selective_scan_vllm_kernelI18SSMFwdKernelTraitsILi128ELi4ELi8ELb0ELb1ELb0EEEv13SSMParamsBase
	.globl	_Z26selective_scan_vllm_kernelI18SSMFwdKernelTraitsILi128ELi4ELi8ELb0ELb1ELb0EEEv13SSMParamsBase
	.p2align	8
	.type	_Z26selective_scan_vllm_kernelI18SSMFwdKernelTraitsILi128ELi4ELi8ELb0ELb1ELb0EEEv13SSMParamsBase,@function
_Z26selective_scan_vllm_kernelI18SSMFwdKernelTraitsILi128ELi4ELi8ELb0ELb1ELb0EEEv13SSMParamsBase: ; @_Z26selective_scan_vllm_kernelI18SSMFwdKernelTraitsILi128ELi4ELi8ELb0ELb1ELb0EEEv13SSMParamsBase
; %bb.0:
	s_load_dwordx2 s[12:13], s[4:5], 0x4
	s_add_u32 s0, s0, s8
	s_addc_u32 s1, s1, 0
	s_clause 0x4
	s_load_dwordx4 s[28:31], s[4:5], 0x38
	s_load_dwordx2 s[14:15], s[4:5], 0x48
	s_load_dwordx2 s[16:17], s[4:5], 0x88
	s_load_dwordx4 s[52:55], s[4:5], 0x78
	s_load_dwordx8 s[36:43], s[4:5], 0x18
	v_cmp_ne_u32_e64 s24, 0, v0
	s_abs_i32 s19, s6
	s_ashr_i32 s18, s6, 31
	s_waitcnt lgkmcnt(0)
	s_abs_i32 s9, s12
	s_ashr_i32 s20, s12, 31
	v_cvt_f32_u32_e32 v1, s9
	s_sub_i32 s8, 0, s9
	v_rcp_iflag_f32_e32 v1, v1
	v_mul_f32_e32 v1, 0x4f7ffffe, v1
	v_cvt_u32_f32_e32 v1, v1
	v_readfirstlane_b32 s10, v1
	s_mul_i32 s8, s8, s10
	s_mul_hi_u32 s11, s10, s8
	v_cmp_eq_u32_e64 s8, 0, v0
	s_add_i32 s10, s10, s11
	s_mul_hi_u32 s11, s19, s10
	s_lshl_b32 s10, s7, 9
	s_and_saveexec_b32 s21, s8
	s_cbranch_execz .LBB6_2
; %bb.1:
	s_add_i32 s22, s10, 0x200
	s_not_b32 s23, s10
	s_min_i32 s22, s22, s13
	v_mov_b32_e32 v3, 0
	s_add_i32 s22, s22, s23
	s_ashr_i32 s23, s22, 31
	s_lshr_b32 s23, s23, 30
	s_add_i32 s23, s22, s23
	s_and_b32 s25, s23, -4
	s_ashr_i32 s23, s23, 2
	s_sub_i32 s22, s22, s25
	v_mov_b32_e32 v1, s23
	v_mov_b32_e32 v2, s22
	ds_write_b64 v3, v[1:2] offset:36960
.LBB6_2:
	s_or_b32 exec_lo, exec_lo, s21
	s_mul_i32 s21, s11, s9
	s_xor_b32 s18, s18, s20
	s_sub_i32 s19, s19, s21
	s_add_i32 s20, s11, 1
	s_sub_i32 s21, s19, s9
	s_cmp_ge_u32 s19, s9
	v_mov_b32_e32 v7, 0
	s_cselect_b32 s11, s20, s11
	s_cselect_b32 s19, s21, s19
	s_add_i32 s20, s11, 1
	s_cmp_ge_u32 s19, s9
	s_waitcnt lgkmcnt(0)
	s_cselect_b32 s9, s20, s11
	s_barrier
	s_xor_b32 s9, s9, s18
	buffer_gl0_inv
	s_sub_i32 s22, s9, s18
	ds_read_b64 v[3:4], v7 offset:36960
	s_mul_i32 s20, s22, s52
	s_mul_i32 s9, s22, s12
	s_ashr_i32 s21, s20, 31
	s_sub_i32 s18, s6, s9
	s_lshl_b64 s[26:27], s[20:21], 2
	v_lshlrev_b32_e32 v5, 2, v0
	s_mul_i32 s20, s18, s53
	s_add_u32 s9, s36, s26
	s_addc_u32 s11, s37, s27
	s_ashr_i32 s21, s20, 31
	v_add_nc_u32_e32 v1, s10, v5
	s_lshl_b64 s[34:35], s[20:21], 2
	v_mov_b32_e32 v6, 0
	s_add_u32 s25, s9, s34
	s_addc_u32 s33, s11, s35
	s_ashr_i32 s19, s18, 31
	v_cmp_le_i32_e64 s10, s13, v1
	s_lshl_b64 s[20:21], s[18:19], 2
	v_cmp_gt_i32_e64 s9, s13, v1
	v_ashrrev_i32_e32 v2, 31, v1
	s_add_u32 s14, s14, s20
	s_addc_u32 s15, s15, s21
	s_and_saveexec_b32 s11, s9
	s_cbranch_execz .LBB6_4
; %bb.3:
	v_lshlrev_b64 v[8:9], 2, v[1:2]
	v_add_co_u32 v8, vcc_lo, s25, v8
	v_add_co_ci_u32_e64 v9, null, s33, v9, vcc_lo
	global_load_dword v6, v[8:9], off
.LBB6_4:
	s_or_b32 exec_lo, exec_lo, s11
	s_load_dword s15, s[14:15], 0x0
	s_add_u32 s11, s38, s26
	s_addc_u32 s12, s39, s27
	s_add_u32 s19, s11, s34
	s_addc_u32 s23, s12, s35
	s_and_saveexec_b32 s11, s9
	s_cbranch_execz .LBB6_6
; %bb.5:
	v_lshlrev_b64 v[7:8], 2, v[1:2]
	v_add_co_u32 v7, vcc_lo, s19, v7
	v_add_co_ci_u32_e64 v8, null, s23, v8, vcc_lo
	global_load_dword v7, v[7:8], off
.LBB6_6:
	s_or_b32 exec_lo, exec_lo, s11
	s_waitcnt vmcnt(0) lgkmcnt(0)
	v_add_f32_e32 v8, s15, v7
	v_mul_f32_e32 v7, 0x3fb8aa3b, v8
	v_exp_f32_e32 v7, v7
	v_add_f32_e32 v7, 1.0, v7
	v_cmp_gt_f32_e32 vcc_lo, 0x800000, v7
	v_cndmask_b32_e64 v9, 0, 32, vcc_lo
	v_cndmask_b32_e64 v10, 0, 0x41b17218, vcc_lo
	v_ldexp_f32 v7, v7, v9
	v_log_f32_e32 v7, v7
	v_mul_f32_e32 v9, 0x3f317217, v7
	v_cmp_gt_f32_e64 vcc_lo, 0x7f800000, |v7|
	v_fma_f32 v9, 0x3f317217, v7, -v9
	v_fmamk_f32 v9, v7, 0x3377d1cf, v9
	v_fmac_f32_e32 v9, 0x3f317217, v7
	v_cndmask_b32_e32 v7, v7, v9, vcc_lo
	v_lshl_add_u32 v9, v5, 2, 0
	v_cmp_lt_f32_e32 vcc_lo, 0x41a00000, v8
	v_sub_f32_e32 v5, v7, v10
	v_or_b32_e32 v10, 1, v1
	v_mov_b32_e32 v7, 0
	v_add_nc_u32_e32 v11, 32, v9
	v_cndmask_b32_e32 v8, v5, v8, vcc_lo
	v_cmp_gt_i32_e64 s11, s13, v10
	v_mov_b32_e32 v5, 0
	ds_write2st64_b32 v11, v6, v8 offset1:8
	s_and_saveexec_b32 s12, s11
	s_cbranch_execz .LBB6_8
; %bb.7:
	v_lshlrev_b64 v[5:6], 2, v[1:2]
	v_add_co_u32 v5, vcc_lo, s25, v5
	v_add_co_ci_u32_e64 v6, null, s33, v6, vcc_lo
	global_load_dword v5, v[5:6], off offset:4
.LBB6_8:
	s_or_b32 exec_lo, exec_lo, s12
	s_and_saveexec_b32 s12, s11
	s_cbranch_execz .LBB6_10
; %bb.9:
	v_lshlrev_b64 v[6:7], 2, v[1:2]
	v_add_co_u32 v6, vcc_lo, s19, v6
	v_add_co_ci_u32_e64 v7, null, s23, v7, vcc_lo
	global_load_dword v7, v[6:7], off offset:4
.LBB6_10:
	s_or_b32 exec_lo, exec_lo, s12
	s_waitcnt vmcnt(0)
	v_add_f32_e32 v6, s15, v7
	v_add_nc_u32_e32 v11, 36, v9
	v_mul_f32_e32 v7, 0x3fb8aa3b, v6
	v_exp_f32_e32 v7, v7
	v_add_f32_e32 v7, 1.0, v7
	v_cmp_gt_f32_e32 vcc_lo, 0x800000, v7
	v_cndmask_b32_e64 v8, 0, 32, vcc_lo
	v_cndmask_b32_e64 v10, 0, 0x41b17218, vcc_lo
	v_ldexp_f32 v7, v7, v8
	v_log_f32_e32 v7, v7
	v_mul_f32_e32 v8, 0x3f317217, v7
	v_cmp_gt_f32_e64 vcc_lo, 0x7f800000, |v7|
	v_fma_f32 v8, 0x3f317217, v7, -v8
	v_fmamk_f32 v8, v7, 0x3377d1cf, v8
	v_fmac_f32_e32 v8, 0x3f317217, v7
	v_cndmask_b32_e32 v7, v7, v8, vcc_lo
	v_cmp_lt_f32_e32 vcc_lo, 0x41a00000, v6
	v_sub_f32_e32 v8, v7, v10
	v_or_b32_e32 v10, 2, v1
	v_mov_b32_e32 v7, 0
	v_cndmask_b32_e32 v8, v8, v6, vcc_lo
	v_cmp_gt_i32_e64 s12, s13, v10
	v_mov_b32_e32 v6, 0
	ds_write2st64_b32 v11, v5, v8 offset1:8
	s_and_saveexec_b32 s14, s12
	s_cbranch_execz .LBB6_12
; %bb.11:
	v_lshlrev_b64 v[5:6], 2, v[1:2]
	v_add_co_u32 v5, vcc_lo, s25, v5
	v_add_co_ci_u32_e64 v6, null, s33, v6, vcc_lo
	global_load_dword v6, v[5:6], off offset:8
.LBB6_12:
	s_or_b32 exec_lo, exec_lo, s14
	s_and_saveexec_b32 s14, s12
	s_cbranch_execz .LBB6_14
; %bb.13:
	v_lshlrev_b64 v[7:8], 2, v[1:2]
	v_add_co_u32 v7, vcc_lo, s19, v7
	v_add_co_ci_u32_e64 v8, null, s23, v8, vcc_lo
	global_load_dword v7, v[7:8], off offset:8
.LBB6_14:
	s_or_b32 exec_lo, exec_lo, s14
	s_waitcnt vmcnt(0)
	v_add_f32_e32 v7, s15, v7
	v_add_nc_u32_e32 v11, 40, v9
	v_mul_f32_e32 v5, 0x3fb8aa3b, v7
	v_exp_f32_e32 v5, v5
	v_add_f32_e32 v5, 1.0, v5
	v_cmp_gt_f32_e32 vcc_lo, 0x800000, v5
	v_cndmask_b32_e64 v8, 0, 32, vcc_lo
	v_cndmask_b32_e64 v10, 0, 0x41b17218, vcc_lo
	v_ldexp_f32 v5, v5, v8
	v_log_f32_e32 v5, v5
	v_mul_f32_e32 v8, 0x3f317217, v5
	v_cmp_gt_f32_e64 vcc_lo, 0x7f800000, |v5|
	v_fma_f32 v8, 0x3f317217, v5, -v8
	v_fmamk_f32 v8, v5, 0x3377d1cf, v8
	v_fmac_f32_e32 v8, 0x3f317217, v5
	v_cndmask_b32_e32 v5, v5, v8, vcc_lo
	v_cmp_lt_f32_e32 vcc_lo, 0x41a00000, v7
	v_sub_f32_e32 v8, v5, v10
	v_or_b32_e32 v10, 3, v1
	v_mov_b32_e32 v5, 0
	v_cndmask_b32_e32 v7, v8, v7, vcc_lo
	v_cmp_le_i32_e32 vcc_lo, s13, v10
	v_cmp_gt_i32_e64 s13, s13, v10
	ds_write2st64_b32 v11, v6, v7 offset1:8
	s_and_saveexec_b32 s36, s13
	s_cbranch_execz .LBB6_16
; %bb.15:
	v_lshlrev_b64 v[5:6], 2, v[1:2]
	v_add_co_u32 v5, s14, s25, v5
	v_add_co_ci_u32_e64 v6, null, s33, v6, s14
	global_load_dword v5, v[5:6], off offset:12
.LBB6_16:
	s_or_b32 exec_lo, exec_lo, s36
	s_and_saveexec_b32 s14, vcc_lo
	s_xor_b32 s14, exec_lo, s14
	s_or_saveexec_b32 s14, s14
	s_clause 0x1
	s_load_dword s25, s[4:5], 0x10
	s_load_dwordx8 s[44:51], s[4:5], 0x58
	v_mov_b32_e32 v10, 0
	v_mov_b32_e32 v6, 0
	s_xor_b32 exec_lo, exec_lo, s14
	s_cbranch_execz .LBB6_18
; %bb.17:
	v_lshlrev_b64 v[6:7], 2, v[1:2]
	v_add_co_u32 v6, vcc_lo, s19, v6
	v_add_co_ci_u32_e64 v7, null, s23, v7, vcc_lo
	global_load_dword v6, v[6:7], off offset:12
.LBB6_18:
	s_or_b32 exec_lo, exec_lo, s14
	s_waitcnt vmcnt(0)
	v_add_f32_e32 v6, s15, v6
	v_cmp_eq_u32_e64 s14, v0, v3
	v_lshlrev_b32_e32 v17, 3, v4
	s_add_u32 s20, s30, s20
	s_addc_u32 s21, s31, s21
	v_mul_f32_e32 v7, 0x3fb8aa3b, v6
	v_mbcnt_lo_u32_b32 v13, -1, 0
	s_mul_i32 s15, s18, s17
	s_lshl_b32 s18, s18, 3
	s_mul_i32 s52, s22, s54
	v_exp_f32_e32 v7, v7
	s_mul_i32 s22, s22, s16
	s_cmp_lg_u32 s7, 0
	s_waitcnt lgkmcnt(0)
	s_mul_i32 s16, s6, s25
	v_or_b32_e32 v14, 31, v0
	v_lshrrev_b32_e32 v15, 2, v0
	s_cselect_b32 s53, -1, 0
	s_lshl_b32 s56, s16, 3
	v_lshlrev_b32_e32 v16, 3, v0
	s_add_i32 s6, s15, s22
	v_add_f32_e32 v7, 1.0, v7
	v_cmp_eq_u32_e64 s15, v0, v14
	v_and_b32_e32 v14, 24, v15
	s_ashr_i32 s19, s18, 31
	v_sub_nc_u32_e32 v20, 0, v16
	v_cmp_gt_f32_e32 vcc_lo, 0x800000, v7
	v_and_b32_e32 v15, 3, v13
	v_mov_b32_e32 v16, v17
	s_lshl_b64 s[30:31], s[18:19], 2
	v_add_nc_u32_e32 v17, 0, v14
	v_cndmask_b32_e64 v8, 0, 32, vcc_lo
	v_cndmask_b32_e64 v3, 0, 0x41b17218, vcc_lo
	v_cmp_gt_u32_e64 s4, 4, v0
	v_cmp_lt_u32_e64 s5, 31, v0
	v_lshl_add_u32 v12, v0, 4, 0x1020
	v_ldexp_f32 v7, v7, v8
	v_add_nc_u32_e32 v8, 44, v9
	v_cmp_ne_u32_e64 s22, 0, v15
	v_cmp_lt_u32_e64 s23, 1, v15
	v_add_nc_u32_e32 v19, -8, v17
	v_log_f32_e32 v7, v7
	v_add_nc_u32_e32 v20, v9, v20
	s_ashr_i32 s54, s7, 31
	s_add_u32 s30, s40, s30
	s_mov_b32 s33, 0
	s_addc_u32 s31, s41, s31
	v_mul_f32_e32 v11, 0x3f317217, v7
	v_cmp_gt_f32_e64 vcc_lo, 0x7f800000, |v7|
	v_fma_f32 v11, 0x3f317217, v7, -v11
	v_fmamk_f32 v11, v7, 0x3377d1cf, v11
	v_fmac_f32_e32 v11, 0x3f317217, v7
	v_cndmask_b32_e32 v4, v7, v11, vcc_lo
	v_cmp_lt_f32_e32 vcc_lo, 0x41a00000, v6
	v_and_b32_e32 v7, 15, v13
	v_and_b32_e32 v11, 16, v13
	v_sub_f32_e32 v3, v4, v3
	v_cmp_ne_u32_e64 s17, 0, v7
	v_cmp_lt_u32_e64 s18, 1, v7
	v_cmp_lt_u32_e64 s19, 3, v7
	v_cndmask_b32_e32 v3, v3, v6, vcc_lo
	ds_write2st64_b32 v8, v5, v3 offset1:8
	s_waitcnt lgkmcnt(0)
	s_barrier
	buffer_gl0_inv
	s_load_dword s36, s[20:21], 0x0
	ds_read2_b32 v[3:4], v9 offset0:8 offset1:9
	ds_read2_b32 v[5:6], v9 offset0:10 offset1:11
	v_sub_co_u32 v8, s16, v13, 1
	v_cmp_lt_u32_e64 s20, 7, v7
	v_cmp_ne_u32_e64 s21, 0, v11
	v_cmp_gt_i32_e32 vcc_lo, 0, v8
	v_cndmask_b32_e32 v7, v8, v13, vcc_lo
	v_lshlrev_b32_e32 v18, 2, v7
	s_waitcnt lgkmcnt(0)
	v_mul_f32_e32 v15, s36, v3
	v_mul_f32_e32 v14, s36, v4
	;; [unrolled: 1-line block ×4, first 2 shown]
	s_mov_b32 s36, s6
	s_branch .LBB6_20
.LBB6_19:                               ;   in Loop: Header=BB6_20 Depth=1
	s_or_b32 exec_lo, exec_lo, s38
	v_fmac_f32_e32 v21, v4, v23
	v_fmac_f32_e32 v24, v4, v22
	;; [unrolled: 1-line block ×4, first 2 shown]
	v_add_nc_u32_e32 v12, 0x800, v12
	s_waitcnt lgkmcnt(1)
	v_fmac_f32_e32 v15, v7, v21
	v_fmac_f32_e32 v14, v8, v24
	s_waitcnt lgkmcnt(0)
	v_fmac_f32_e32 v13, v5, v26
	v_fmac_f32_e32 v11, v6, v27
	s_add_i32 s33, s33, 4
	s_add_i32 s52, s52, s55
	;; [unrolled: 1-line block ×4, first 2 shown]
	s_add_u32 s30, s30, 4
	s_addc_u32 s31, s31, 0
	s_cmp_eq_u32 s33, 32
	s_waitcnt_vscnt null, 0x0
	s_barrier
	buffer_gl0_inv
	s_cbranch_scc1 .LBB6_64
.LBB6_20:                               ; =>This Inner Loop Header: Depth=1
	s_and_saveexec_b32 s40, s8
	s_cbranch_execz .LBB6_25
; %bb.21:                               ;   in Loop: Header=BB6_20 Depth=1
	s_and_b32 vcc_lo, exec_lo, s53
	s_cbranch_vccz .LBB6_63
; %bb.22:                               ;   in Loop: Header=BB6_20 Depth=1
	s_ashr_i32 s37, s56, 31
	s_add_u32 s38, s7, s56
	s_addc_u32 s39, s54, s37
	s_lshl_b64 s[38:39], s[38:39], 2
	s_add_u32 s58, s48, s38
	s_addc_u32 s59, s49, s39
	s_add_u32 s37, s50, s38
	global_load_dword v3, v10, s[58:59] offset:-4
	s_addc_u32 s39, s51, s39
	s_add_u32 s38, s37, -4
	s_addc_u32 s39, s39, -1
	s_cbranch_execnz .LBB6_24
.LBB6_23:                               ;   in Loop: Header=BB6_20 Depth=1
	s_ashr_i32 s37, s36, 31
	s_waitcnt vmcnt(0)
	v_mov_b32_e32 v3, 1.0
	s_lshl_b64 s[38:39], s[36:37], 2
	s_add_u32 s38, s44, s38
	s_addc_u32 s39, s45, s39
.LBB6_24:                               ;   in Loop: Header=BB6_20 Depth=1
	global_load_dword v4, v10, s[38:39]
	s_add_i32 s37, s33, 0
	v_add_nc_u32_e64 v5, 0x9000, s37
	s_waitcnt vmcnt(0)
	ds_write2_b32 v5, v3, v4 offset0:8 offset1:16
.LBB6_25:                               ;   in Loop: Header=BB6_20 Depth=1
	s_or_b32 exec_lo, exec_lo, s40
	v_add_nc_u32_e32 v7, 0, v12
	s_and_saveexec_b32 s37, s10
	s_xor_b32 s37, exec_lo, s37
; %bb.26:                               ;   in Loop: Header=BB6_20 Depth=1
	ds_write_b32 v7, v10
; %bb.27:                               ;   in Loop: Header=BB6_20 Depth=1
	s_or_saveexec_b32 s37, s37
	v_mov_b32_e32 v3, 0
	v_mov_b32_e32 v4, 0
	s_xor_b32 exec_lo, exec_lo, s37
	s_cbranch_execz .LBB6_29
; %bb.28:                               ;   in Loop: Header=BB6_20 Depth=1
	v_add_nc_u32_e32 v4, s52, v1
	v_ashrrev_i32_e32 v5, 31, v4
	v_lshlrev_b64 v[4:5], 2, v[4:5]
	v_add_co_u32 v21, vcc_lo, s42, v4
	v_add_co_ci_u32_e64 v22, null, s43, v5, vcc_lo
	v_add_co_u32 v4, vcc_lo, s28, v4
	v_add_co_ci_u32_e64 v5, null, s29, v5, vcc_lo
	global_load_dword v6, v[21:22], off
	global_load_dword v4, v[4:5], off
	s_waitcnt vmcnt(1)
	ds_write_b32 v7, v6
.LBB6_29:                               ;   in Loop: Header=BB6_20 Depth=1
	s_or_b32 exec_lo, exec_lo, s37
	s_waitcnt vmcnt(0)
	ds_write_b32 v7, v4 offset:16384
	s_and_saveexec_b32 s37, s11
	s_cbranch_execz .LBB6_31
; %bb.30:                               ;   in Loop: Header=BB6_20 Depth=1
	s_ashr_i32 s38, s52, 31
	v_add_co_u32 v3, vcc_lo, s52, v1
	v_add_co_ci_u32_e64 v4, null, s38, v2, vcc_lo
	v_lshlrev_b64 v[3:4], 2, v[3:4]
	v_add_co_u32 v3, vcc_lo, s42, v3
	v_add_co_ci_u32_e64 v4, null, s43, v4, vcc_lo
	global_load_dword v3, v[3:4], off offset:4
.LBB6_31:                               ;   in Loop: Header=BB6_20 Depth=1
	s_or_b32 exec_lo, exec_lo, s37
	v_mov_b32_e32 v4, 0
	v_mov_b32_e32 v5, 0
	s_waitcnt vmcnt(0)
	ds_write_b32 v7, v3 offset:4
	s_and_saveexec_b32 s37, s11
	s_cbranch_execz .LBB6_33
; %bb.32:                               ;   in Loop: Header=BB6_20 Depth=1
	s_ashr_i32 s38, s52, 31
	v_add_co_u32 v5, vcc_lo, s52, v1
	v_add_co_ci_u32_e64 v6, null, s38, v2, vcc_lo
	v_lshlrev_b64 v[5:6], 2, v[5:6]
	v_add_co_u32 v5, vcc_lo, s28, v5
	v_add_co_ci_u32_e64 v6, null, s29, v6, vcc_lo
	global_load_dword v5, v[5:6], off offset:4
.LBB6_33:                               ;   in Loop: Header=BB6_20 Depth=1
	s_or_b32 exec_lo, exec_lo, s37
	s_waitcnt vmcnt(0)
	ds_write_b32 v7, v5 offset:16388
	s_and_saveexec_b32 s37, s12
	s_cbranch_execz .LBB6_35
; %bb.34:                               ;   in Loop: Header=BB6_20 Depth=1
	s_ashr_i32 s38, s52, 31
	v_add_co_u32 v3, vcc_lo, s52, v1
	v_add_co_ci_u32_e64 v4, null, s38, v2, vcc_lo
	v_lshlrev_b64 v[3:4], 2, v[3:4]
	v_add_co_u32 v3, vcc_lo, s42, v3
	v_add_co_ci_u32_e64 v4, null, s43, v4, vcc_lo
	global_load_dword v4, v[3:4], off offset:8
.LBB6_35:                               ;   in Loop: Header=BB6_20 Depth=1
	s_or_b32 exec_lo, exec_lo, s37
	v_mov_b32_e32 v3, 0
	v_mov_b32_e32 v5, 0
	s_waitcnt vmcnt(0)
	ds_write_b32 v7, v4 offset:8
	s_and_saveexec_b32 s37, s12
	s_cbranch_execz .LBB6_37
; %bb.36:                               ;   in Loop: Header=BB6_20 Depth=1
	s_ashr_i32 s38, s52, 31
	v_add_co_u32 v4, vcc_lo, s52, v1
	v_add_co_ci_u32_e64 v5, null, s38, v2, vcc_lo
	v_lshlrev_b64 v[4:5], 2, v[4:5]
	v_add_co_u32 v4, vcc_lo, s28, v4
	v_add_co_ci_u32_e64 v5, null, s29, v5, vcc_lo
	global_load_dword v5, v[4:5], off offset:8
.LBB6_37:                               ;   in Loop: Header=BB6_20 Depth=1
	s_or_b32 exec_lo, exec_lo, s37
	s_waitcnt vmcnt(0)
	ds_write_b32 v7, v5 offset:16392
	s_and_saveexec_b32 s37, s13
	s_cbranch_execz .LBB6_39
; %bb.38:                               ;   in Loop: Header=BB6_20 Depth=1
	s_ashr_i32 s38, s52, 31
	v_add_co_u32 v3, vcc_lo, s52, v1
	v_add_co_ci_u32_e64 v4, null, s38, v2, vcc_lo
	v_lshlrev_b64 v[3:4], 2, v[3:4]
	v_add_co_u32 v3, vcc_lo, s42, v3
	v_add_co_ci_u32_e64 v4, null, s43, v4, vcc_lo
	global_load_dword v3, v[3:4], off offset:12
.LBB6_39:                               ;   in Loop: Header=BB6_20 Depth=1
	s_or_b32 exec_lo, exec_lo, s37
	v_mov_b32_e32 v4, 0
	s_waitcnt vmcnt(0)
	ds_write_b32 v7, v3 offset:12
	s_and_saveexec_b32 s37, s13
	s_cbranch_execz .LBB6_41
; %bb.40:                               ;   in Loop: Header=BB6_20 Depth=1
	s_ashr_i32 s38, s52, 31
	v_add_co_u32 v3, vcc_lo, s52, v1
	v_add_co_ci_u32_e64 v4, null, s38, v2, vcc_lo
	v_lshlrev_b64 v[3:4], 2, v[3:4]
	v_add_co_u32 v3, vcc_lo, s28, v3
	v_add_co_ci_u32_e64 v4, null, s29, v4, vcc_lo
	global_load_dword v4, v[3:4], off offset:12
.LBB6_41:                               ;   in Loop: Header=BB6_20 Depth=1
	s_or_b32 exec_lo, exec_lo, s37
	s_waitcnt vmcnt(0)
	ds_write_b32 v7, v4 offset:16396
	s_waitcnt lgkmcnt(0)
	s_barrier
	buffer_gl0_inv
	global_load_dword v8, v10, s[30:31]
	v_add_nc_u32_e32 v3, 0x820, v9
	v_add_nc_u32_e32 v21, 0x828, v9
	ds_read2_b32 v[3:4], v3 offset1:1
	ds_read2_b32 v[5:6], v7 offset0:2 offset1:3
	ds_read2_b32 v[21:22], v21 offset1:1
	ds_read2_b32 v[23:24], v7 offset1:1
	ds_read2_b32 v[25:26], v9 offset0:8 offset1:9
	ds_read2_b32 v[27:28], v9 offset0:10 offset1:11
	s_add_i32 s37, s33, 0
	v_add_nc_u32_e64 v32, 0x9000, s37
	s_waitcnt lgkmcnt(3)
	v_mul_f32_e32 v5, v21, v5
	v_mul_f32_e32 v6, v22, v6
	s_waitcnt vmcnt(0)
	v_mul_f32_e32 v29, v3, v8
	v_mul_f32_e32 v30, v4, v8
	;; [unrolled: 1-line block ×3, first 2 shown]
	s_waitcnt lgkmcnt(2)
	v_mul_f32_e32 v3, v3, v23
	v_mul_f32_e32 v8, v22, v8
	;; [unrolled: 1-line block ×6, first 2 shown]
	s_waitcnt lgkmcnt(1)
	v_mul_f32_e32 v21, v25, v3
	v_exp_f32_e32 v23, v29
	v_exp_f32_e32 v31, v30
	v_mul_f32_e32 v3, 0x3fb8aa3b, v8
	v_exp_f32_e32 v33, v33
	v_mul_f32_e32 v8, v26, v4
	s_waitcnt lgkmcnt(0)
	v_mul_f32_e32 v29, v27, v5
	v_exp_f32_e32 v30, v3
	ds_read2_b32 v[3:4], v32 offset0:8 offset1:16
	v_mul_f32_e32 v32, v28, v6
	v_mul_f32_e32 v22, v23, v31
	v_fma_f32 v24, v21, v31, v8
	v_mul_f32_e32 v25, v22, v33
	v_fma_f32 v26, v24, v33, v29
	;; [unrolled: 2-line block ×3, first 2 shown]
	v_mov_b32_dpp v5, v28 row_shr:1 row_mask:0xf bank_mask:0xf
	v_mov_b32_dpp v6, v27 row_shr:1 row_mask:0xf bank_mask:0xf
	v_mov_b32_e32 v34, v27
	v_mov_b32_e32 v35, v28
	s_and_saveexec_b32 s38, s17
; %bb.42:                               ;   in Loop: Header=BB6_20 Depth=1
	v_mov_b32_e32 v34, v27
	v_mul_f32_e32 v35, v28, v5
	v_fmac_f32_e32 v34, v28, v6
; %bb.43:                               ;   in Loop: Header=BB6_20 Depth=1
	s_or_b32 exec_lo, exec_lo, s38
	v_mov_b32_dpp v6, v35 row_shr:2 row_mask:0xf bank_mask:0xf
	v_mov_b32_dpp v5, v34 row_shr:2 row_mask:0xf bank_mask:0xf
	s_and_saveexec_b32 s38, s18
; %bb.44:                               ;   in Loop: Header=BB6_20 Depth=1
	v_mul_f32_e32 v6, v35, v6
	v_fmac_f32_e32 v34, v35, v5
	v_mov_b32_e32 v35, v6
; %bb.45:                               ;   in Loop: Header=BB6_20 Depth=1
	s_or_b32 exec_lo, exec_lo, s38
	v_mov_b32_dpp v6, v35 row_shr:4 row_mask:0xf bank_mask:0xf
	v_mov_b32_dpp v5, v34 row_shr:4 row_mask:0xf bank_mask:0xf
	s_and_saveexec_b32 s38, s19
; %bb.46:                               ;   in Loop: Header=BB6_20 Depth=1
	v_mul_f32_e32 v6, v35, v6
	v_fmac_f32_e32 v34, v35, v5
	v_mov_b32_e32 v35, v6
	;; [unrolled: 9-line block ×3, first 2 shown]
; %bb.49:                               ;   in Loop: Header=BB6_20 Depth=1
	s_or_b32 exec_lo, exec_lo, s38
	ds_swizzle_b32 v5, v35 offset:swizzle(BROADCAST,32,15)
	ds_swizzle_b32 v6, v34 offset:swizzle(BROADCAST,32,15)
	s_and_saveexec_b32 s38, s21
	s_cbranch_execz .LBB6_51
; %bb.50:                               ;   in Loop: Header=BB6_20 Depth=1
	s_waitcnt lgkmcnt(0)
	v_fmac_f32_e32 v34, v35, v6
	v_mul_f32_e32 v35, v35, v5
.LBB6_51:                               ;   in Loop: Header=BB6_20 Depth=1
	s_or_b32 exec_lo, exec_lo, s38
	s_and_saveexec_b32 s38, s15
; %bb.52:                               ;   in Loop: Header=BB6_20 Depth=1
	ds_write2_b32 v17, v35, v34 offset1:1
; %bb.53:                               ;   in Loop: Header=BB6_20 Depth=1
	s_or_b32 exec_lo, exec_lo, s38
	s_waitcnt lgkmcnt(0)
	s_barrier
	buffer_gl0_inv
	s_and_saveexec_b32 s38, s4
	s_cbranch_execz .LBB6_57
; %bb.54:                               ;   in Loop: Header=BB6_20 Depth=1
	ds_read2_b32 v[5:6], v20 offset1:1
	s_waitcnt lgkmcnt(0)
	v_mov_b32_dpp v36, v5 row_shr:1 row_mask:0xf bank_mask:0xf
	v_mov_b32_dpp v37, v6 row_shr:1 row_mask:0xf bank_mask:0xf
	s_and_saveexec_b32 s39, s22
; %bb.55:                               ;   in Loop: Header=BB6_20 Depth=1
	v_fma_f32 v6, v5, v37, v6
	v_mul_f32_e32 v5, v5, v36
; %bb.56:                               ;   in Loop: Header=BB6_20 Depth=1
	s_or_b32 exec_lo, exec_lo, s39
	v_mov_b32_dpp v36, v5 row_shr:2 row_mask:0xf bank_mask:0xf
	v_mov_b32_dpp v37, v6 row_shr:2 row_mask:0xf bank_mask:0xf
	v_mul_f32_e32 v36, v5, v36
	v_fma_f32 v37, v5, v37, v6
	v_cndmask_b32_e64 v5, v5, v36, s23
	v_cndmask_b32_e64 v6, v6, v37, s23
	ds_write2_b32 v20, v5, v6 offset1:1
.LBB6_57:                               ;   in Loop: Header=BB6_20 Depth=1
	s_or_b32 exec_lo, exec_lo, s38
	s_waitcnt lgkmcnt(0)
	s_barrier
	buffer_gl0_inv
                                        ; implicit-def: $vgpr6
	s_and_saveexec_b32 s38, s5
	s_cbranch_execz .LBB6_59
; %bb.58:                               ;   in Loop: Header=BB6_20 Depth=1
	ds_read2_b32 v[5:6], v19 offset1:1
	s_waitcnt lgkmcnt(0)
	v_mul_f32_e32 v36, v35, v5
	v_fmac_f32_e32 v34, v35, v6
	v_mov_b32_e32 v35, v36
.LBB6_59:                               ;   in Loop: Header=BB6_20 Depth=1
	s_or_b32 exec_lo, exec_lo, s38
	ds_bpermute_b32 v35, v18, v35
	ds_bpermute_b32 v34, v18, v34
	s_and_saveexec_b32 s38, s24
	s_cbranch_execz .LBB6_61
; %bb.60:                               ;   in Loop: Header=BB6_20 Depth=1
	s_waitcnt lgkmcnt(0)
	v_cndmask_b32_e64 v6, v34, v6, s16
	v_cndmask_b32_e64 v5, v35, v5, s16
	;;#ASMSTART
	;;#ASMEND
	v_fmac_f32_e32 v21, v23, v6
	v_mul_f32_e32 v23, v23, v5
	v_fmac_f32_e32 v8, v21, v31
	v_mul_f32_e32 v22, v23, v31
	;; [unrolled: 2-line block ×3, first 2 shown]
	v_mov_b32_e32 v24, v8
	v_fmac_f32_e32 v32, v29, v30
	v_mul_f32_e32 v28, v25, v30
	v_mov_b32_e32 v26, v29
	v_mov_b32_e32 v27, v32
.LBB6_61:                               ;   in Loop: Header=BB6_20 Depth=1
	s_or_b32 exec_lo, exec_lo, s38
	v_add_nc_u32_e32 v5, 0x4000, v7
	v_add_nc_u32_e32 v6, 0x4008, v7
	buffer_store_dword v23, off, s[0:3], 0
	buffer_store_dword v21, off, s[0:3], 0 offset:4
	buffer_store_dword v22, off, s[0:3], 0 offset:8
	;; [unrolled: 1-line block ×7, first 2 shown]
	s_waitcnt lgkmcnt(0)
	s_waitcnt_vscnt null, 0x0
	s_barrier
	buffer_gl0_inv
	ds_read2_b32 v[7:8], v5 offset1:1
	ds_read2_b32 v[5:6], v6 offset1:1
	s_and_saveexec_b32 s38, s14
	s_cbranch_execz .LBB6_19
; %bb.62:                               ;   in Loop: Header=BB6_20 Depth=1
	s_clause 0x1
	buffer_load_dword v29, v16, s[0:3], 0 offen
	buffer_load_dword v30, v16, s[0:3], 0 offen offset:4
	s_add_i32 s40, s7, s56
	v_add_nc_u32_e64 v31, 0x9000, s37
	s_ashr_i32 s41, s40, 31
	s_lshl_b64 s[40:41], s[40:41], 2
	s_add_u32 s58, s48, s40
	s_addc_u32 s59, s49, s41
	s_add_u32 s40, s50, s40
	s_addc_u32 s41, s51, s41
	s_waitcnt vmcnt(1)
	v_mul_f32_e32 v3, v3, v29
	s_waitcnt vmcnt(0)
	v_fmac_f32_e32 v30, v4, v29
	global_store_dword v10, v3, s[58:59]
	global_store_dword v10, v30, s[40:41]
	ds_write2_b32 v31, v3, v30 offset0:8 offset1:16
	s_branch .LBB6_19
.LBB6_63:                               ;   in Loop: Header=BB6_20 Depth=1
                                        ; implicit-def: $sgpr38_sgpr39
                                        ; implicit-def: $vgpr3
	s_branch .LBB6_23
.LBB6_64:
	v_lshlrev_b64 v[1:2], 2, v[1:2]
	s_add_u32 s4, s46, s26
	s_addc_u32 s5, s47, s27
	s_add_u32 s4, s4, s34
	s_addc_u32 s5, s5, s35
	s_and_saveexec_b32 s8, s9
	s_cbranch_execnz .LBB6_72
; %bb.65:
	s_or_b32 exec_lo, exec_lo, s8
	s_and_saveexec_b32 s8, s11
	s_cbranch_execnz .LBB6_73
.LBB6_66:
	s_or_b32 exec_lo, exec_lo, s8
	s_and_saveexec_b32 s8, s12
	s_cbranch_execnz .LBB6_74
.LBB6_67:
	s_or_b32 exec_lo, exec_lo, s8
	s_and_saveexec_b32 s8, s13
	s_cbranch_execz .LBB6_69
.LBB6_68:
	v_add_co_u32 v1, vcc_lo, s4, v1
	v_add_co_ci_u32_e64 v2, null, s5, v2, vcc_lo
	global_store_dword v[1:2], v11, off offset:12
.LBB6_69:
	s_or_b32 exec_lo, exec_lo, s8
	s_add_i32 s25, s25, -1
	v_cmp_gt_u32_e32 vcc_lo, 8, v0
	s_cmp_eq_u32 s7, s25
	s_cselect_b32 s4, -1, 0
	s_and_b32 s4, s4, vcc_lo
	s_and_saveexec_b32 s5, s4
	s_cbranch_execz .LBB6_71
; %bb.70:
	v_lshl_add_u32 v1, v0, 2, 0
	v_add_nc_u32_e32 v0, s6, v0
	ds_read_b32 v2, v1 offset:36928
	v_ashrrev_i32_e32 v1, 31, v0
	v_lshlrev_b64 v[0:1], 2, v[0:1]
	v_add_co_u32 v0, vcc_lo, s44, v0
	v_add_co_ci_u32_e64 v1, null, s45, v1, vcc_lo
	s_waitcnt lgkmcnt(0)
	global_store_dword v[0:1], v2, off
.LBB6_71:
	s_endpgm
.LBB6_72:
	v_add_co_u32 v3, vcc_lo, s4, v1
	v_add_co_ci_u32_e64 v4, null, s5, v2, vcc_lo
	global_store_dword v[3:4], v15, off
	s_or_b32 exec_lo, exec_lo, s8
	s_and_saveexec_b32 s8, s11
	s_cbranch_execz .LBB6_66
.LBB6_73:
	v_add_co_u32 v3, vcc_lo, s4, v1
	v_add_co_ci_u32_e64 v4, null, s5, v2, vcc_lo
	global_store_dword v[3:4], v14, off offset:4
	s_or_b32 exec_lo, exec_lo, s8
	s_and_saveexec_b32 s8, s12
	s_cbranch_execz .LBB6_67
.LBB6_74:
	v_add_co_u32 v3, vcc_lo, s4, v1
	v_add_co_ci_u32_e64 v4, null, s5, v2, vcc_lo
	global_store_dword v[3:4], v13, off offset:8
	s_or_b32 exec_lo, exec_lo, s8
	s_and_saveexec_b32 s8, s13
	s_cbranch_execnz .LBB6_68
	s_branch .LBB6_69
	.section	.rodata,"a",@progbits
	.p2align	6, 0x0
	.amdhsa_kernel _Z26selective_scan_vllm_kernelI18SSMFwdKernelTraitsILi128ELi4ELi8ELb0ELb1ELb0EEEv13SSMParamsBase
		.amdhsa_group_segment_fixed_size 0
		.amdhsa_private_segment_fixed_size 48
		.amdhsa_kernarg_size 144
		.amdhsa_user_sgpr_count 6
		.amdhsa_user_sgpr_private_segment_buffer 1
		.amdhsa_user_sgpr_dispatch_ptr 0
		.amdhsa_user_sgpr_queue_ptr 0
		.amdhsa_user_sgpr_kernarg_segment_ptr 1
		.amdhsa_user_sgpr_dispatch_id 0
		.amdhsa_user_sgpr_flat_scratch_init 0
		.amdhsa_user_sgpr_private_segment_size 0
		.amdhsa_wavefront_size32 1
		.amdhsa_uses_dynamic_stack 0
		.amdhsa_system_sgpr_private_segment_wavefront_offset 1
		.amdhsa_system_sgpr_workgroup_id_x 1
		.amdhsa_system_sgpr_workgroup_id_y 1
		.amdhsa_system_sgpr_workgroup_id_z 0
		.amdhsa_system_sgpr_workgroup_info 0
		.amdhsa_system_vgpr_workitem_id 0
		.amdhsa_next_free_vgpr 38
		.amdhsa_next_free_sgpr 60
		.amdhsa_reserve_vcc 1
		.amdhsa_reserve_flat_scratch 0
		.amdhsa_float_round_mode_32 0
		.amdhsa_float_round_mode_16_64 0
		.amdhsa_float_denorm_mode_32 3
		.amdhsa_float_denorm_mode_16_64 3
		.amdhsa_dx10_clamp 1
		.amdhsa_ieee_mode 1
		.amdhsa_fp16_overflow 0
		.amdhsa_workgroup_processor_mode 1
		.amdhsa_memory_ordered 1
		.amdhsa_forward_progress 1
		.amdhsa_shared_vgpr_count 0
		.amdhsa_exception_fp_ieee_invalid_op 0
		.amdhsa_exception_fp_denorm_src 0
		.amdhsa_exception_fp_ieee_div_zero 0
		.amdhsa_exception_fp_ieee_overflow 0
		.amdhsa_exception_fp_ieee_underflow 0
		.amdhsa_exception_fp_ieee_inexact 0
		.amdhsa_exception_int_div_zero 0
	.end_amdhsa_kernel
	.section	.text._Z26selective_scan_vllm_kernelI18SSMFwdKernelTraitsILi128ELi4ELi8ELb0ELb1ELb0EEEv13SSMParamsBase,"axG",@progbits,_Z26selective_scan_vllm_kernelI18SSMFwdKernelTraitsILi128ELi4ELi8ELb0ELb1ELb0EEEv13SSMParamsBase,comdat
.Lfunc_end6:
	.size	_Z26selective_scan_vllm_kernelI18SSMFwdKernelTraitsILi128ELi4ELi8ELb0ELb1ELb0EEEv13SSMParamsBase, .Lfunc_end6-_Z26selective_scan_vllm_kernelI18SSMFwdKernelTraitsILi128ELi4ELi8ELb0ELb1ELb0EEEv13SSMParamsBase
                                        ; -- End function
	.set _Z26selective_scan_vllm_kernelI18SSMFwdKernelTraitsILi128ELi4ELi8ELb0ELb1ELb0EEEv13SSMParamsBase.num_vgpr, 38
	.set _Z26selective_scan_vllm_kernelI18SSMFwdKernelTraitsILi128ELi4ELi8ELb0ELb1ELb0EEEv13SSMParamsBase.num_agpr, 0
	.set _Z26selective_scan_vllm_kernelI18SSMFwdKernelTraitsILi128ELi4ELi8ELb0ELb1ELb0EEEv13SSMParamsBase.numbered_sgpr, 60
	.set _Z26selective_scan_vllm_kernelI18SSMFwdKernelTraitsILi128ELi4ELi8ELb0ELb1ELb0EEEv13SSMParamsBase.num_named_barrier, 0
	.set _Z26selective_scan_vllm_kernelI18SSMFwdKernelTraitsILi128ELi4ELi8ELb0ELb1ELb0EEEv13SSMParamsBase.private_seg_size, 48
	.set _Z26selective_scan_vllm_kernelI18SSMFwdKernelTraitsILi128ELi4ELi8ELb0ELb1ELb0EEEv13SSMParamsBase.uses_vcc, 1
	.set _Z26selective_scan_vllm_kernelI18SSMFwdKernelTraitsILi128ELi4ELi8ELb0ELb1ELb0EEEv13SSMParamsBase.uses_flat_scratch, 0
	.set _Z26selective_scan_vllm_kernelI18SSMFwdKernelTraitsILi128ELi4ELi8ELb0ELb1ELb0EEEv13SSMParamsBase.has_dyn_sized_stack, 0
	.set _Z26selective_scan_vllm_kernelI18SSMFwdKernelTraitsILi128ELi4ELi8ELb0ELb1ELb0EEEv13SSMParamsBase.has_recursion, 0
	.set _Z26selective_scan_vllm_kernelI18SSMFwdKernelTraitsILi128ELi4ELi8ELb0ELb1ELb0EEEv13SSMParamsBase.has_indirect_call, 0
	.section	.AMDGPU.csdata,"",@progbits
; Kernel info:
; codeLenInByte = 3892
; TotalNumSgprs: 62
; NumVgprs: 38
; ScratchSize: 48
; MemoryBound: 0
; FloatMode: 240
; IeeeMode: 1
; LDSByteSize: 0 bytes/workgroup (compile time only)
; SGPRBlocks: 0
; VGPRBlocks: 4
; NumSGPRsForWavesPerEU: 62
; NumVGPRsForWavesPerEU: 38
; Occupancy: 16
; WaveLimiterHint : 0
; COMPUTE_PGM_RSRC2:SCRATCH_EN: 1
; COMPUTE_PGM_RSRC2:USER_SGPR: 6
; COMPUTE_PGM_RSRC2:TRAP_HANDLER: 0
; COMPUTE_PGM_RSRC2:TGID_X_EN: 1
; COMPUTE_PGM_RSRC2:TGID_Y_EN: 1
; COMPUTE_PGM_RSRC2:TGID_Z_EN: 0
; COMPUTE_PGM_RSRC2:TIDIG_COMP_CNT: 0
	.section	.text._Z26selective_scan_vllm_kernelI18SSMFwdKernelTraitsILi128ELi4ELi8ELb0ELb0ELb1EEEv13SSMParamsBase,"axG",@progbits,_Z26selective_scan_vllm_kernelI18SSMFwdKernelTraitsILi128ELi4ELi8ELb0ELb0ELb1EEEv13SSMParamsBase,comdat
	.protected	_Z26selective_scan_vllm_kernelI18SSMFwdKernelTraitsILi128ELi4ELi8ELb0ELb0ELb1EEEv13SSMParamsBase ; -- Begin function _Z26selective_scan_vllm_kernelI18SSMFwdKernelTraitsILi128ELi4ELi8ELb0ELb0ELb1EEEv13SSMParamsBase
	.globl	_Z26selective_scan_vllm_kernelI18SSMFwdKernelTraitsILi128ELi4ELi8ELb0ELb0ELb1EEEv13SSMParamsBase
	.p2align	8
	.type	_Z26selective_scan_vllm_kernelI18SSMFwdKernelTraitsILi128ELi4ELi8ELb0ELb0ELb1EEEv13SSMParamsBase,@function
_Z26selective_scan_vllm_kernelI18SSMFwdKernelTraitsILi128ELi4ELi8ELb0ELb0ELb1EEEv13SSMParamsBase: ; @_Z26selective_scan_vllm_kernelI18SSMFwdKernelTraitsILi128ELi4ELi8ELb0ELb0ELb1EEEv13SSMParamsBase
; %bb.0:
	s_add_u32 s0, s0, s8
	s_clause 0x1
	s_load_dword s8, s[4:5], 0x4
	s_load_dword s33, s[4:5], 0x10
	s_addc_u32 s1, s1, 0
	s_clause 0x5
	s_load_dwordx4 s[28:31], s[4:5], 0x38
	s_load_dwordx2 s[10:11], s[4:5], 0x48
	s_load_dwordx8 s[20:27], s[4:5], 0x58
	s_load_dwordx2 s[48:49], s[4:5], 0x88
	s_load_dwordx4 s[44:47], s[4:5], 0x78
	s_load_dwordx8 s[36:43], s[4:5], 0x18
	v_cmp_eq_u32_e64 s5, 0, v0
	s_abs_i32 s14, s6
	s_ashr_i32 s13, s6, 31
	s_mov_b32 s50, 0
	s_waitcnt lgkmcnt(0)
	s_abs_i32 s9, s8
	s_ashr_i32 s15, s8, 31
	v_cvt_f32_u32_e32 v1, s9
	s_sub_i32 s4, 0, s9
	v_rcp_iflag_f32_e32 v1, v1
	v_mul_f32_e32 v1, 0x4f7ffffe, v1
	v_cvt_u32_f32_e32 v1, v1
	v_readfirstlane_b32 s12, v1
	s_mul_i32 s4, s4, s12
	s_mul_hi_u32 s16, s12, s4
	v_cmp_ne_u32_e64 s4, 0, v0
	s_add_i32 s12, s12, s16
	s_mul_hi_u32 s12, s14, s12
	s_and_saveexec_b32 s16, s5
	s_cbranch_execz .LBB7_2
; %bb.1:
	v_mov_b32_e32 v1, 0x7f
	v_mov_b32_e32 v2, 3
	;; [unrolled: 1-line block ×3, first 2 shown]
	ds_write_b64 v3, v[1:2] offset:36960
.LBB7_2:
	s_or_b32 exec_lo, exec_lo, s16
	s_mul_i32 s16, s12, s9
	s_xor_b32 s13, s13, s15
	s_sub_i32 s14, s14, s16
	s_add_i32 s15, s12, 1
	s_sub_i32 s16, s14, s9
	s_cmp_ge_u32 s14, s9
	v_lshlrev_b32_e32 v13, 2, v0
	s_cselect_b32 s12, s15, s12
	s_cselect_b32 s14, s16, s14
	s_add_i32 s15, s12, 1
	s_cmp_ge_u32 s14, s9
	s_waitcnt lgkmcnt(0)
	s_cselect_b32 s9, s15, s12
	s_lshl_b32 s18, s7, 9
	s_xor_b32 s9, s9, s13
	v_or_b32_e32 v1, s18, v13
	s_sub_i32 s51, s9, s13
	s_barrier
	s_mul_i32 s12, s51, s8
	s_mul_i32 s8, s51, s44
	s_sub_i32 s44, s6, s12
	s_ashr_i32 s9, s8, 31
	v_ashrrev_i32_e32 v2, 31, v1
	s_lshl_b64 s[34:35], s[8:9], 2
	s_mul_i32 s8, s44, s45
	s_add_u32 s12, s36, s34
	s_addc_u32 s13, s37, s35
	s_ashr_i32 s9, s8, 31
	v_lshlrev_b64 v[5:6], 2, v[1:2]
	s_lshl_b64 s[36:37], s[8:9], 2
	buffer_gl0_inv
	s_add_u32 s8, s12, s36
	s_addc_u32 s9, s13, s37
	s_add_u32 s12, s38, s34
	s_addc_u32 s13, s39, s35
	;; [unrolled: 2-line block ×3, first 2 shown]
	v_add_co_u32 v1, vcc_lo, s12, v5
	v_add_co_ci_u32_e64 v2, null, s13, v6, vcc_lo
	v_add_co_u32 v7, vcc_lo, s8, v5
	v_add_co_ci_u32_e64 v8, null, s9, v6, vcc_lo
	global_load_dwordx4 v[1:4], v[1:2], off
	global_load_dwordx4 v[7:10], v[7:8], off
	s_ashr_i32 s45, s44, 31
	s_mul_i32 s52, s6, s33
	s_lshl_b64 s[38:39], s[44:45], 2
	v_mov_b32_e32 v14, 0
	s_add_u32 s10, s10, s38
	s_addc_u32 s11, s11, s39
	v_lshl_add_u32 v15, v0, 4, 0
	s_load_dword s6, s[10:11], 0x0
	ds_read_b64 v[11:12], v14 offset:36960
	s_add_u32 s30, s30, s38
	s_addc_u32 s31, s31, s39
	v_add_nc_u32_e32 v16, 0x820, v15
	v_add_nc_u32_e32 v17, 0x828, v15
	v_mbcnt_lo_u32_b32 v19, -1, 0
	v_lshrrev_b32_e32 v20, 2, v0
	v_lshlrev_b32_e32 v21, 3, v0
	v_or_b32_e32 v18, 31, v0
	v_cmp_gt_u32_e64 s19, 4, v0
	v_sub_co_u32 v24, s10, v19, 1
	v_and_b32_e32 v22, 15, v19
	v_and_b32_e32 v20, 24, v20
	;; [unrolled: 1-line block ×3, first 2 shown]
	v_cmp_gt_i32_e32 vcc_lo, 0, v24
	v_sub_nc_u32_e32 v25, 0, v21
	v_and_b32_e32 v21, 3, v19
	v_cmp_ne_u32_e64 s11, 0, v22
	v_cmp_lt_u32_e64 s12, 1, v22
	v_cmp_lt_u32_e64 s13, 3, v22
	;; [unrolled: 1-line block ×3, first 2 shown]
	v_cndmask_b32_e32 v22, v24, v19, vcc_lo
	v_add_nc_u32_e32 v19, 0, v20
	v_cmp_lt_u32_e64 s8, 31, v0
	v_cmp_eq_u32_e64 s9, v0, v18
	v_add_nc_u32_e32 v18, 0x1020, v15
	v_cmp_ne_u32_e64 s15, 0, v23
	v_cmp_ne_u32_e64 s16, 0, v21
	v_cmp_lt_u32_e64 s17, 1, v21
	v_lshlrev_b32_e32 v20, 2, v22
	v_add_nc_u32_e32 v21, -8, v19
	v_add_nc_u32_e32 v23, v15, v25
	s_waitcnt vmcnt(1) lgkmcnt(0)
	v_add_f32_e32 v1, s6, v1
	v_add_f32_e32 v2, s6, v2
	;; [unrolled: 1-line block ×4, first 2 shown]
	s_waitcnt vmcnt(0)
	ds_write2_b32 v15, v7, v8 offset0:8 offset1:9
	ds_write2_b32 v15, v9, v10 offset0:10 offset1:11
	ds_write2_b32 v16, v1, v2 offset1:1
	ds_write2_b32 v17, v3, v4 offset1:1
	s_waitcnt lgkmcnt(0)
	s_barrier
	buffer_gl0_inv
	s_load_dword s38, s[30:31], 0x0
	ds_read2_b32 v[1:2], v15 offset0:8 offset1:9
	ds_read2_b32 v[3:4], v15 offset0:10 offset1:11
	v_lshlrev_b32_e32 v8, 3, v12
	s_lshl_b32 s30, s44, 3
	s_mul_i32 s6, s51, s46
	s_cmp_lg_u32 s7, 0
	v_add3_u32 v7, s6, s18, v13
	s_mul_i32 s6, s44, s49
	s_cselect_b32 s44, -1, 0
	s_ashr_i32 s31, s30, 31
	s_mul_i32 s51, s51, s48
	v_cmp_eq_u32_e64 s18, v0, v11
	v_mov_b32_e32 v22, v8
	s_lshl_b64 s[30:31], s[30:31], 2
	s_add_i32 s6, s6, s51
	s_ashr_i32 s45, s7, 31
	s_lshl_b32 s46, s52, 3
	s_add_u32 s30, s40, s30
	s_addc_u32 s31, s41, s31
	s_mov_b32 s48, 0
	s_waitcnt lgkmcnt(0)
	v_mul_f32_e32 v1, s38, v1
	v_mul_f32_e32 v2, s38, v2
	v_mul_f32_e32 v3, s38, v3
	v_mul_f32_e32 v4, s38, v4
	s_mov_b32 s38, s6
	s_branch .LBB7_4
.LBB7_3:                                ;   in Loop: Header=BB7_4 Depth=1
	s_or_b32 exec_lo, exec_lo, s39
	v_fmac_f32_e32 v24, v9, v27
	v_fmac_f32_e32 v28, v9, v26
	;; [unrolled: 1-line block ×4, first 2 shown]
	s_addk_i32 s48, 0x800
	s_waitcnt lgkmcnt(1)
	v_fmac_f32_e32 v1, v12, v24
	v_fmac_f32_e32 v2, v13, v28
	s_waitcnt lgkmcnt(0)
	v_fmac_f32_e32 v3, v10, v30
	v_fmac_f32_e32 v4, v11, v31
	s_add_i32 s50, s50, 4
	v_add_nc_u32_e32 v7, s47, v7
	s_add_i32 s38, s38, 1
	s_add_i32 s46, s46, s33
	s_add_u32 s30, s30, 4
	s_addc_u32 s31, s31, 0
	s_cmpk_eq_i32 s48, 0x4000
	s_waitcnt_vscnt null, 0x0
	s_barrier
	buffer_gl0_inv
	s_cbranch_scc1 .LBB7_32
.LBB7_4:                                ; =>This Inner Loop Header: Depth=1
	s_and_saveexec_b32 s49, s5
	s_cbranch_execz .LBB7_9
; %bb.5:                                ;   in Loop: Header=BB7_4 Depth=1
	s_and_b32 vcc_lo, exec_lo, s44
	s_cbranch_vccz .LBB7_31
; %bb.6:                                ;   in Loop: Header=BB7_4 Depth=1
	s_ashr_i32 s39, s46, 31
	s_add_u32 s40, s7, s46
	s_addc_u32 s41, s45, s39
	s_lshl_b64 s[40:41], s[40:41], 2
	s_add_u32 s52, s24, s40
	s_addc_u32 s53, s25, s41
	s_add_u32 s39, s26, s40
	global_load_dword v8, v14, s[52:53] offset:-4
	s_addc_u32 s41, s27, s41
	s_add_u32 s40, s39, -4
	s_addc_u32 s41, s41, -1
	s_cbranch_execnz .LBB7_8
.LBB7_7:                                ;   in Loop: Header=BB7_4 Depth=1
	s_ashr_i32 s39, s38, 31
	s_waitcnt vmcnt(0)
	v_mov_b32_e32 v8, 1.0
	s_lshl_b64 s[40:41], s[38:39], 2
	s_add_u32 s40, s20, s40
	s_addc_u32 s41, s21, s41
.LBB7_8:                                ;   in Loop: Header=BB7_4 Depth=1
	global_load_dword v9, v14, s[40:41]
	v_add_nc_u32_e64 v10, 0x9000, s50
	s_waitcnt vmcnt(0)
	ds_write2_b32 v10, v8, v9 offset0:8 offset1:16
.LBB7_9:                                ;   in Loop: Header=BB7_4 Depth=1
	s_or_b32 exec_lo, exec_lo, s49
	v_ashrrev_i32_e32 v8, 31, v7
	v_add_nc_u32_e64 v36, 0x9000, s50
	v_lshlrev_b64 v[8:9], 2, v[7:8]
	v_add_co_u32 v10, vcc_lo, s42, v8
	v_add_co_ci_u32_e64 v11, null, s43, v9, vcc_lo
	v_add_co_u32 v12, vcc_lo, s28, v8
	v_add_co_ci_u32_e64 v13, null, s29, v9, vcc_lo
	global_load_dwordx4 v[8:11], v[10:11], off
	global_load_dwordx4 v[26:29], v[12:13], off
	v_add_nc_u32_e32 v13, s48, v18
	v_add_nc_u32_e32 v12, 0x4000, v13
	;; [unrolled: 1-line block ×3, first 2 shown]
	s_waitcnt vmcnt(1)
	ds_write2_b32 v13, v8, v9 offset1:1
	s_waitcnt vmcnt(0)
	ds_write2_b32 v12, v26, v27 offset1:1
	ds_write2_b32 v13, v10, v11 offset0:2 offset1:3
	ds_write2_b32 v25, v28, v29 offset1:1
	s_waitcnt lgkmcnt(0)
	s_barrier
	buffer_gl0_inv
	global_load_dword v24, v14, s[30:31]
	ds_read2_b32 v[8:9], v16 offset1:1
	ds_read2_b32 v[10:11], v13 offset0:2 offset1:3
	ds_read2_b32 v[28:29], v17 offset1:1
	ds_read2_b32 v[30:31], v13 offset1:1
	ds_read2_b32 v[32:33], v15 offset0:8 offset1:9
	ds_read2_b32 v[38:39], v15 offset0:10 offset1:11
	s_waitcnt lgkmcnt(3)
	v_mul_f32_e32 v10, v28, v10
	v_mul_f32_e32 v11, v29, v11
	s_waitcnt vmcnt(0)
	v_mul_f32_e32 v13, v8, v24
	v_mul_f32_e32 v26, v9, v24
	;; [unrolled: 1-line block ×3, first 2 shown]
	s_waitcnt lgkmcnt(2)
	v_mul_f32_e32 v8, v8, v30
	v_mul_f32_e32 v30, v29, v24
	;; [unrolled: 1-line block ×6, first 2 shown]
	s_waitcnt lgkmcnt(1)
	v_mul_f32_e32 v24, v32, v8
	v_exp_f32_e32 v27, v13
	v_exp_f32_e32 v35, v26
	v_mul_f32_e32 v8, 0x3fb8aa3b, v30
	v_exp_f32_e32 v37, v34
	v_mul_f32_e32 v13, v33, v9
	s_waitcnt lgkmcnt(0)
	v_mul_f32_e32 v33, v38, v10
	v_exp_f32_e32 v34, v8
	ds_read2_b32 v[8:9], v36 offset0:8 offset1:16
	v_mul_f32_e32 v36, v39, v11
	v_mul_f32_e32 v26, v27, v35
	v_fma_f32 v28, v24, v35, v13
	v_mul_f32_e32 v29, v26, v37
	v_fma_f32 v30, v28, v37, v33
	;; [unrolled: 2-line block ×3, first 2 shown]
	v_mov_b32_dpp v10, v32 row_shr:1 row_mask:0xf bank_mask:0xf
	v_mov_b32_dpp v11, v31 row_shr:1 row_mask:0xf bank_mask:0xf
	v_mov_b32_e32 v38, v31
	v_mov_b32_e32 v39, v32
	s_and_saveexec_b32 s39, s11
; %bb.10:                               ;   in Loop: Header=BB7_4 Depth=1
	v_mov_b32_e32 v38, v31
	v_mul_f32_e32 v39, v32, v10
	v_fmac_f32_e32 v38, v32, v11
; %bb.11:                               ;   in Loop: Header=BB7_4 Depth=1
	s_or_b32 exec_lo, exec_lo, s39
	v_mov_b32_dpp v11, v39 row_shr:2 row_mask:0xf bank_mask:0xf
	v_mov_b32_dpp v10, v38 row_shr:2 row_mask:0xf bank_mask:0xf
	s_and_saveexec_b32 s39, s12
; %bb.12:                               ;   in Loop: Header=BB7_4 Depth=1
	v_mul_f32_e32 v11, v39, v11
	v_fmac_f32_e32 v38, v39, v10
	v_mov_b32_e32 v39, v11
; %bb.13:                               ;   in Loop: Header=BB7_4 Depth=1
	s_or_b32 exec_lo, exec_lo, s39
	v_mov_b32_dpp v11, v39 row_shr:4 row_mask:0xf bank_mask:0xf
	v_mov_b32_dpp v10, v38 row_shr:4 row_mask:0xf bank_mask:0xf
	s_and_saveexec_b32 s39, s13
; %bb.14:                               ;   in Loop: Header=BB7_4 Depth=1
	v_mul_f32_e32 v11, v39, v11
	v_fmac_f32_e32 v38, v39, v10
	v_mov_b32_e32 v39, v11
	;; [unrolled: 9-line block ×3, first 2 shown]
; %bb.17:                               ;   in Loop: Header=BB7_4 Depth=1
	s_or_b32 exec_lo, exec_lo, s39
	ds_swizzle_b32 v10, v39 offset:swizzle(BROADCAST,32,15)
	ds_swizzle_b32 v11, v38 offset:swizzle(BROADCAST,32,15)
	s_and_saveexec_b32 s39, s15
	s_cbranch_execz .LBB7_19
; %bb.18:                               ;   in Loop: Header=BB7_4 Depth=1
	s_waitcnt lgkmcnt(0)
	v_fmac_f32_e32 v38, v39, v11
	v_mul_f32_e32 v39, v39, v10
.LBB7_19:                               ;   in Loop: Header=BB7_4 Depth=1
	s_or_b32 exec_lo, exec_lo, s39
	s_and_saveexec_b32 s39, s9
; %bb.20:                               ;   in Loop: Header=BB7_4 Depth=1
	ds_write2_b32 v19, v39, v38 offset1:1
; %bb.21:                               ;   in Loop: Header=BB7_4 Depth=1
	s_or_b32 exec_lo, exec_lo, s39
	s_waitcnt lgkmcnt(0)
	s_barrier
	buffer_gl0_inv
	s_and_saveexec_b32 s39, s19
	s_cbranch_execz .LBB7_25
; %bb.22:                               ;   in Loop: Header=BB7_4 Depth=1
	ds_read2_b32 v[10:11], v23 offset1:1
	s_waitcnt lgkmcnt(0)
	v_mov_b32_dpp v40, v10 row_shr:1 row_mask:0xf bank_mask:0xf
	v_mov_b32_dpp v41, v11 row_shr:1 row_mask:0xf bank_mask:0xf
	s_and_saveexec_b32 s40, s16
; %bb.23:                               ;   in Loop: Header=BB7_4 Depth=1
	v_fma_f32 v11, v10, v41, v11
	v_mul_f32_e32 v10, v10, v40
; %bb.24:                               ;   in Loop: Header=BB7_4 Depth=1
	s_or_b32 exec_lo, exec_lo, s40
	v_mov_b32_dpp v40, v10 row_shr:2 row_mask:0xf bank_mask:0xf
	v_mov_b32_dpp v41, v11 row_shr:2 row_mask:0xf bank_mask:0xf
	v_mul_f32_e32 v40, v10, v40
	v_fma_f32 v41, v10, v41, v11
	v_cndmask_b32_e64 v10, v10, v40, s17
	v_cndmask_b32_e64 v11, v11, v41, s17
	ds_write2_b32 v23, v10, v11 offset1:1
.LBB7_25:                               ;   in Loop: Header=BB7_4 Depth=1
	s_or_b32 exec_lo, exec_lo, s39
	s_waitcnt lgkmcnt(0)
	s_barrier
	buffer_gl0_inv
                                        ; implicit-def: $vgpr11
	s_and_saveexec_b32 s39, s8
	s_cbranch_execz .LBB7_27
; %bb.26:                               ;   in Loop: Header=BB7_4 Depth=1
	ds_read2_b32 v[10:11], v21 offset1:1
	s_waitcnt lgkmcnt(0)
	v_mul_f32_e32 v40, v39, v10
	v_fmac_f32_e32 v38, v39, v11
	v_mov_b32_e32 v39, v40
.LBB7_27:                               ;   in Loop: Header=BB7_4 Depth=1
	s_or_b32 exec_lo, exec_lo, s39
	ds_bpermute_b32 v39, v20, v39
	ds_bpermute_b32 v38, v20, v38
	s_and_saveexec_b32 s39, s4
	s_cbranch_execz .LBB7_29
; %bb.28:                               ;   in Loop: Header=BB7_4 Depth=1
	s_waitcnt lgkmcnt(0)
	v_cndmask_b32_e64 v11, v38, v11, s10
	v_cndmask_b32_e64 v10, v39, v10, s10
	;;#ASMSTART
	;;#ASMEND
	v_fmac_f32_e32 v24, v27, v11
	v_mul_f32_e32 v27, v27, v10
	v_fmac_f32_e32 v13, v24, v35
	v_mul_f32_e32 v26, v27, v35
	;; [unrolled: 2-line block ×3, first 2 shown]
	v_mov_b32_e32 v28, v13
	v_fmac_f32_e32 v36, v33, v34
	v_mul_f32_e32 v32, v29, v34
	v_mov_b32_e32 v30, v33
	v_mov_b32_e32 v31, v36
.LBB7_29:                               ;   in Loop: Header=BB7_4 Depth=1
	s_or_b32 exec_lo, exec_lo, s39
	buffer_store_dword v27, off, s[0:3], 0
	buffer_store_dword v24, off, s[0:3], 0 offset:4
	buffer_store_dword v26, off, s[0:3], 0 offset:8
	;; [unrolled: 1-line block ×7, first 2 shown]
	s_waitcnt lgkmcnt(0)
	s_waitcnt_vscnt null, 0x0
	s_barrier
	buffer_gl0_inv
	ds_read2_b32 v[12:13], v12 offset1:1
	ds_read2_b32 v[10:11], v25 offset1:1
	s_and_saveexec_b32 s39, s18
	s_cbranch_execz .LBB7_3
; %bb.30:                               ;   in Loop: Header=BB7_4 Depth=1
	s_clause 0x1
	buffer_load_dword v25, v22, s[0:3], 0 offen
	buffer_load_dword v33, v22, s[0:3], 0 offen offset:4
	s_add_i32 s40, s7, s46
	v_add_nc_u32_e64 v34, 0x9000, s50
	s_ashr_i32 s41, s40, 31
	s_lshl_b64 s[40:41], s[40:41], 2
	s_add_u32 s52, s24, s40
	s_addc_u32 s53, s25, s41
	s_add_u32 s40, s26, s40
	s_addc_u32 s41, s27, s41
	s_waitcnt vmcnt(1)
	v_mul_f32_e32 v8, v8, v25
	s_waitcnt vmcnt(0)
	v_fmac_f32_e32 v33, v9, v25
	global_store_dword v14, v8, s[52:53]
	global_store_dword v14, v33, s[40:41]
	ds_write2_b32 v34, v8, v33 offset0:8 offset1:16
	s_branch .LBB7_3
.LBB7_31:                               ;   in Loop: Header=BB7_4 Depth=1
                                        ; implicit-def: $sgpr40_sgpr41
                                        ; implicit-def: $vgpr8
	s_branch .LBB7_7
.LBB7_32:
	s_add_u32 s4, s22, s34
	s_addc_u32 s5, s23, s35
	s_add_u32 s4, s4, s36
	s_addc_u32 s5, s5, s37
	v_add_co_u32 v5, vcc_lo, s4, v5
	s_add_i32 s33, s33, -1
	v_add_co_ci_u32_e64 v6, null, s5, v6, vcc_lo
	v_cmp_gt_u32_e32 vcc_lo, 8, v0
	s_cmp_eq_u32 s7, s33
	s_cselect_b32 s4, -1, 0
	global_store_dwordx4 v[5:6], v[1:4], off
	s_and_b32 s4, s4, vcc_lo
	s_and_saveexec_b32 s5, s4
	s_cbranch_execz .LBB7_34
; %bb.33:
	v_lshl_add_u32 v1, v0, 2, 0
	v_add_nc_u32_e32 v0, s6, v0
	ds_read_b32 v2, v1 offset:36928
	v_ashrrev_i32_e32 v1, 31, v0
	v_lshlrev_b64 v[0:1], 2, v[0:1]
	v_add_co_u32 v0, vcc_lo, s20, v0
	v_add_co_ci_u32_e64 v1, null, s21, v1, vcc_lo
	s_waitcnt lgkmcnt(0)
	global_store_dword v[0:1], v2, off
.LBB7_34:
	s_endpgm
	.section	.rodata,"a",@progbits
	.p2align	6, 0x0
	.amdhsa_kernel _Z26selective_scan_vllm_kernelI18SSMFwdKernelTraitsILi128ELi4ELi8ELb0ELb0ELb1EEEv13SSMParamsBase
		.amdhsa_group_segment_fixed_size 0
		.amdhsa_private_segment_fixed_size 48
		.amdhsa_kernarg_size 144
		.amdhsa_user_sgpr_count 6
		.amdhsa_user_sgpr_private_segment_buffer 1
		.amdhsa_user_sgpr_dispatch_ptr 0
		.amdhsa_user_sgpr_queue_ptr 0
		.amdhsa_user_sgpr_kernarg_segment_ptr 1
		.amdhsa_user_sgpr_dispatch_id 0
		.amdhsa_user_sgpr_flat_scratch_init 0
		.amdhsa_user_sgpr_private_segment_size 0
		.amdhsa_wavefront_size32 1
		.amdhsa_uses_dynamic_stack 0
		.amdhsa_system_sgpr_private_segment_wavefront_offset 1
		.amdhsa_system_sgpr_workgroup_id_x 1
		.amdhsa_system_sgpr_workgroup_id_y 1
		.amdhsa_system_sgpr_workgroup_id_z 0
		.amdhsa_system_sgpr_workgroup_info 0
		.amdhsa_system_vgpr_workitem_id 0
		.amdhsa_next_free_vgpr 42
		.amdhsa_next_free_sgpr 54
		.amdhsa_reserve_vcc 1
		.amdhsa_reserve_flat_scratch 0
		.amdhsa_float_round_mode_32 0
		.amdhsa_float_round_mode_16_64 0
		.amdhsa_float_denorm_mode_32 3
		.amdhsa_float_denorm_mode_16_64 3
		.amdhsa_dx10_clamp 1
		.amdhsa_ieee_mode 1
		.amdhsa_fp16_overflow 0
		.amdhsa_workgroup_processor_mode 1
		.amdhsa_memory_ordered 1
		.amdhsa_forward_progress 1
		.amdhsa_shared_vgpr_count 0
		.amdhsa_exception_fp_ieee_invalid_op 0
		.amdhsa_exception_fp_denorm_src 0
		.amdhsa_exception_fp_ieee_div_zero 0
		.amdhsa_exception_fp_ieee_overflow 0
		.amdhsa_exception_fp_ieee_underflow 0
		.amdhsa_exception_fp_ieee_inexact 0
		.amdhsa_exception_int_div_zero 0
	.end_amdhsa_kernel
	.section	.text._Z26selective_scan_vllm_kernelI18SSMFwdKernelTraitsILi128ELi4ELi8ELb0ELb0ELb1EEEv13SSMParamsBase,"axG",@progbits,_Z26selective_scan_vllm_kernelI18SSMFwdKernelTraitsILi128ELi4ELi8ELb0ELb0ELb1EEEv13SSMParamsBase,comdat
.Lfunc_end7:
	.size	_Z26selective_scan_vllm_kernelI18SSMFwdKernelTraitsILi128ELi4ELi8ELb0ELb0ELb1EEEv13SSMParamsBase, .Lfunc_end7-_Z26selective_scan_vllm_kernelI18SSMFwdKernelTraitsILi128ELi4ELi8ELb0ELb0ELb1EEEv13SSMParamsBase
                                        ; -- End function
	.set _Z26selective_scan_vllm_kernelI18SSMFwdKernelTraitsILi128ELi4ELi8ELb0ELb0ELb1EEEv13SSMParamsBase.num_vgpr, 42
	.set _Z26selective_scan_vllm_kernelI18SSMFwdKernelTraitsILi128ELi4ELi8ELb0ELb0ELb1EEEv13SSMParamsBase.num_agpr, 0
	.set _Z26selective_scan_vllm_kernelI18SSMFwdKernelTraitsILi128ELi4ELi8ELb0ELb0ELb1EEEv13SSMParamsBase.numbered_sgpr, 54
	.set _Z26selective_scan_vllm_kernelI18SSMFwdKernelTraitsILi128ELi4ELi8ELb0ELb0ELb1EEEv13SSMParamsBase.num_named_barrier, 0
	.set _Z26selective_scan_vllm_kernelI18SSMFwdKernelTraitsILi128ELi4ELi8ELb0ELb0ELb1EEEv13SSMParamsBase.private_seg_size, 48
	.set _Z26selective_scan_vllm_kernelI18SSMFwdKernelTraitsILi128ELi4ELi8ELb0ELb0ELb1EEEv13SSMParamsBase.uses_vcc, 1
	.set _Z26selective_scan_vllm_kernelI18SSMFwdKernelTraitsILi128ELi4ELi8ELb0ELb0ELb1EEEv13SSMParamsBase.uses_flat_scratch, 0
	.set _Z26selective_scan_vllm_kernelI18SSMFwdKernelTraitsILi128ELi4ELi8ELb0ELb0ELb1EEEv13SSMParamsBase.has_dyn_sized_stack, 0
	.set _Z26selective_scan_vllm_kernelI18SSMFwdKernelTraitsILi128ELi4ELi8ELb0ELb0ELb1EEEv13SSMParamsBase.has_recursion, 0
	.set _Z26selective_scan_vllm_kernelI18SSMFwdKernelTraitsILi128ELi4ELi8ELb0ELb0ELb1EEEv13SSMParamsBase.has_indirect_call, 0
	.section	.AMDGPU.csdata,"",@progbits
; Kernel info:
; codeLenInByte = 2256
; TotalNumSgprs: 56
; NumVgprs: 42
; ScratchSize: 48
; MemoryBound: 0
; FloatMode: 240
; IeeeMode: 1
; LDSByteSize: 0 bytes/workgroup (compile time only)
; SGPRBlocks: 0
; VGPRBlocks: 5
; NumSGPRsForWavesPerEU: 56
; NumVGPRsForWavesPerEU: 42
; Occupancy: 16
; WaveLimiterHint : 0
; COMPUTE_PGM_RSRC2:SCRATCH_EN: 1
; COMPUTE_PGM_RSRC2:USER_SGPR: 6
; COMPUTE_PGM_RSRC2:TRAP_HANDLER: 0
; COMPUTE_PGM_RSRC2:TGID_X_EN: 1
; COMPUTE_PGM_RSRC2:TGID_Y_EN: 1
; COMPUTE_PGM_RSRC2:TGID_Z_EN: 0
; COMPUTE_PGM_RSRC2:TIDIG_COMP_CNT: 0
	.section	.text._Z26selective_scan_vllm_kernelI18SSMFwdKernelTraitsILi128ELi4ELi8ELb0ELb0ELb0EEEv13SSMParamsBase,"axG",@progbits,_Z26selective_scan_vllm_kernelI18SSMFwdKernelTraitsILi128ELi4ELi8ELb0ELb0ELb0EEEv13SSMParamsBase,comdat
	.protected	_Z26selective_scan_vllm_kernelI18SSMFwdKernelTraitsILi128ELi4ELi8ELb0ELb0ELb0EEEv13SSMParamsBase ; -- Begin function _Z26selective_scan_vllm_kernelI18SSMFwdKernelTraitsILi128ELi4ELi8ELb0ELb0ELb0EEEv13SSMParamsBase
	.globl	_Z26selective_scan_vllm_kernelI18SSMFwdKernelTraitsILi128ELi4ELi8ELb0ELb0ELb0EEEv13SSMParamsBase
	.p2align	8
	.type	_Z26selective_scan_vllm_kernelI18SSMFwdKernelTraitsILi128ELi4ELi8ELb0ELb0ELb0EEEv13SSMParamsBase,@function
_Z26selective_scan_vllm_kernelI18SSMFwdKernelTraitsILi128ELi4ELi8ELb0ELb0ELb0EEEv13SSMParamsBase: ; @_Z26selective_scan_vllm_kernelI18SSMFwdKernelTraitsILi128ELi4ELi8ELb0ELb0ELb0EEEv13SSMParamsBase
; %bb.0:
	s_load_dwordx2 s[12:13], s[4:5], 0x4
	s_add_u32 s0, s0, s8
	s_addc_u32 s1, s1, 0
	s_clause 0x4
	s_load_dwordx4 s[28:31], s[4:5], 0x38
	s_load_dwordx2 s[14:15], s[4:5], 0x48
	s_load_dwordx2 s[22:23], s[4:5], 0x88
	s_load_dwordx4 s[52:55], s[4:5], 0x78
	s_load_dwordx8 s[36:43], s[4:5], 0x18
	v_cmp_ne_u32_e64 s24, 0, v0
	s_abs_i32 s17, s6
	s_ashr_i32 s16, s6, 31
	s_waitcnt lgkmcnt(0)
	s_abs_i32 s9, s12
	s_ashr_i32 s18, s12, 31
	v_cvt_f32_u32_e32 v1, s9
	s_sub_i32 s8, 0, s9
	v_rcp_iflag_f32_e32 v1, v1
	v_mul_f32_e32 v1, 0x4f7ffffe, v1
	v_cvt_u32_f32_e32 v1, v1
	v_readfirstlane_b32 s10, v1
	s_mul_i32 s8, s8, s10
	s_mul_hi_u32 s11, s10, s8
	v_cmp_eq_u32_e64 s8, 0, v0
	s_add_i32 s10, s10, s11
	s_mul_hi_u32 s11, s17, s10
	s_lshl_b32 s10, s7, 9
	s_and_saveexec_b32 s19, s8
	s_cbranch_execz .LBB8_2
; %bb.1:
	s_add_i32 s20, s10, 0x200
	s_not_b32 s21, s10
	s_min_i32 s20, s20, s13
	v_mov_b32_e32 v3, 0
	s_add_i32 s20, s20, s21
	s_ashr_i32 s21, s20, 31
	s_lshr_b32 s21, s21, 30
	s_add_i32 s21, s20, s21
	s_and_b32 s25, s21, -4
	s_ashr_i32 s21, s21, 2
	s_sub_i32 s20, s20, s25
	v_mov_b32_e32 v1, s21
	v_mov_b32_e32 v2, s20
	ds_write_b64 v3, v[1:2] offset:36960
.LBB8_2:
	s_or_b32 exec_lo, exec_lo, s19
	s_mul_i32 s19, s11, s9
	s_xor_b32 s16, s16, s18
	s_sub_i32 s17, s17, s19
	s_add_i32 s18, s11, 1
	s_sub_i32 s19, s17, s9
	s_cmp_ge_u32 s17, s9
	v_mov_b32_e32 v5, 0
	s_cselect_b32 s11, s18, s11
	s_cselect_b32 s17, s19, s17
	s_add_i32 s18, s11, 1
	s_cmp_ge_u32 s17, s9
	s_waitcnt lgkmcnt(0)
	s_cselect_b32 s9, s18, s11
	s_barrier
	s_xor_b32 s9, s9, s16
	buffer_gl0_inv
	s_sub_i32 s21, s9, s16
	ds_read_b64 v[3:4], v5 offset:36960
	s_mul_i32 s16, s21, s52
	s_mul_i32 s9, s21, s12
	s_ashr_i32 s17, s16, 31
	s_sub_i32 s52, s6, s9
	s_lshl_b64 s[26:27], s[16:17], 2
	v_lshlrev_b32_e32 v6, 2, v0
	s_mul_i32 s16, s52, s53
	s_add_u32 s9, s36, s26
	s_addc_u32 s11, s37, s27
	s_ashr_i32 s17, s16, 31
	v_add_nc_u32_e32 v1, s10, v6
	s_lshl_b64 s[34:35], s[16:17], 2
	v_mov_b32_e32 v7, 0
	s_add_u32 s20, s9, s34
	s_addc_u32 s25, s11, s35
	s_ashr_i32 s53, s52, 31
	v_cmp_le_i32_e64 s10, s13, v1
	s_lshl_b64 s[16:17], s[52:53], 2
	v_cmp_gt_i32_e64 s9, s13, v1
	v_ashrrev_i32_e32 v2, 31, v1
	s_add_u32 s14, s14, s16
	s_addc_u32 s15, s15, s17
	s_and_saveexec_b32 s11, s9
	s_cbranch_execz .LBB8_4
; %bb.3:
	v_lshlrev_b64 v[7:8], 2, v[1:2]
	v_add_co_u32 v7, vcc_lo, s20, v7
	v_add_co_ci_u32_e64 v8, null, s25, v8, vcc_lo
	global_load_dword v7, v[7:8], off
.LBB8_4:
	s_or_b32 exec_lo, exec_lo, s11
	s_load_dword s15, s[14:15], 0x0
	s_add_u32 s11, s38, s26
	s_addc_u32 s12, s39, s27
	s_add_u32 s18, s11, s34
	s_addc_u32 s19, s12, s35
	s_and_saveexec_b32 s11, s9
	s_cbranch_execz .LBB8_6
; %bb.5:
	v_lshlrev_b64 v[8:9], 2, v[1:2]
	v_add_co_u32 v8, vcc_lo, s18, v8
	v_add_co_ci_u32_e64 v9, null, s19, v9, vcc_lo
	global_load_dword v5, v[8:9], off
.LBB8_6:
	s_or_b32 exec_lo, exec_lo, s11
	v_lshl_add_u32 v9, v6, 2, 0
	v_or_b32_e32 v6, 1, v1
	s_waitcnt vmcnt(0) lgkmcnt(0)
	v_add_f32_e32 v8, s15, v5
	v_mov_b32_e32 v5, 0
	v_add_nc_u32_e32 v10, 32, v9
	v_cmp_gt_i32_e64 s11, s13, v6
	v_mov_b32_e32 v6, 0
	ds_write2st64_b32 v10, v7, v8 offset1:8
	s_and_saveexec_b32 s12, s11
	s_cbranch_execz .LBB8_8
; %bb.7:
	v_lshlrev_b64 v[7:8], 2, v[1:2]
	v_add_co_u32 v7, vcc_lo, s20, v7
	v_add_co_ci_u32_e64 v8, null, s25, v8, vcc_lo
	global_load_dword v5, v[7:8], off offset:4
.LBB8_8:
	s_or_b32 exec_lo, exec_lo, s12
	s_and_saveexec_b32 s12, s11
	s_cbranch_execz .LBB8_10
; %bb.9:
	v_lshlrev_b64 v[6:7], 2, v[1:2]
	v_add_co_u32 v6, vcc_lo, s18, v6
	v_add_co_ci_u32_e64 v7, null, s19, v7, vcc_lo
	global_load_dword v6, v[6:7], off offset:4
.LBB8_10:
	s_or_b32 exec_lo, exec_lo, s12
	v_or_b32_e32 v8, 2, v1
	s_waitcnt vmcnt(0)
	v_add_f32_e32 v10, s15, v6
	v_add_nc_u32_e32 v11, 36, v9
	v_mov_b32_e32 v7, 0
	v_mov_b32_e32 v6, 0
	v_cmp_gt_i32_e64 s12, s13, v8
	ds_write2st64_b32 v11, v5, v10 offset1:8
	s_and_saveexec_b32 s14, s12
	s_cbranch_execz .LBB8_12
; %bb.11:
	v_lshlrev_b64 v[5:6], 2, v[1:2]
	v_add_co_u32 v5, vcc_lo, s20, v5
	v_add_co_ci_u32_e64 v6, null, s25, v6, vcc_lo
	global_load_dword v6, v[5:6], off offset:8
.LBB8_12:
	s_or_b32 exec_lo, exec_lo, s14
	s_and_saveexec_b32 s14, s12
	s_cbranch_execz .LBB8_14
; %bb.13:
	v_lshlrev_b64 v[7:8], 2, v[1:2]
	v_add_co_u32 v7, vcc_lo, s18, v7
	v_add_co_ci_u32_e64 v8, null, s19, v8, vcc_lo
	global_load_dword v7, v[7:8], off offset:8
.LBB8_14:
	s_or_b32 exec_lo, exec_lo, s14
	v_or_b32_e32 v5, 3, v1
	s_waitcnt vmcnt(0)
	v_add_f32_e32 v7, s15, v7
	v_add_nc_u32_e32 v8, 40, v9
	v_cmp_le_i32_e32 vcc_lo, s13, v5
	v_cmp_gt_i32_e64 s13, s13, v5
	v_mov_b32_e32 v5, 0
	ds_write2st64_b32 v8, v6, v7 offset1:8
	s_and_saveexec_b32 s33, s13
	s_cbranch_execz .LBB8_16
; %bb.15:
	v_lshlrev_b64 v[5:6], 2, v[1:2]
	v_add_co_u32 v5, s14, s20, v5
	v_add_co_ci_u32_e64 v6, null, s25, v6, s14
	global_load_dword v5, v[5:6], off offset:12
.LBB8_16:
	s_or_b32 exec_lo, exec_lo, s33
	s_and_saveexec_b32 s14, vcc_lo
	s_xor_b32 s14, exec_lo, s14
	s_or_saveexec_b32 s14, s14
	s_clause 0x1
	s_load_dword s25, s[4:5], 0x10
	s_load_dwordx8 s[44:51], s[4:5], 0x58
	v_mov_b32_e32 v10, 0
	v_mov_b32_e32 v6, 0
	s_xor_b32 exec_lo, exec_lo, s14
	s_cbranch_execz .LBB8_18
; %bb.17:
	v_lshlrev_b64 v[6:7], 2, v[1:2]
	v_add_co_u32 v6, vcc_lo, s18, v6
	v_add_co_ci_u32_e64 v7, null, s19, v7, vcc_lo
	global_load_dword v6, v[6:7], off offset:12
.LBB8_18:
	s_or_b32 exec_lo, exec_lo, s14
	s_waitcnt vmcnt(0)
	v_add_f32_e32 v6, s15, v6
	v_add_nc_u32_e32 v7, 44, v9
	s_add_u32 s4, s30, s16
	s_addc_u32 s5, s31, s17
	v_mbcnt_lo_u32_b32 v16, -1, 0
	v_or_b32_e32 v15, 31, v0
	ds_write2st64_b32 v7, v5, v6 offset1:8
	s_waitcnt lgkmcnt(0)
	s_barrier
	buffer_gl0_inv
	s_load_dword s15, s[4:5], 0x0
	ds_read2_b32 v[5:6], v9 offset0:8 offset1:9
	ds_read2_b32 v[7:8], v9 offset0:10 offset1:11
	v_sub_co_u32 v19, s4, v16, 1
	v_cmp_eq_u32_e64 s18, v0, v15
	v_and_b32_e32 v17, 15, v16
	s_lshl_b32 s30, s52, 3
	v_cmp_gt_i32_e32 vcc_lo, 0, v19
	v_and_b32_e32 v18, 16, v16
	v_lshlrev_b32_e32 v4, 3, v4
	s_cmp_lg_u32 s7, 0
	s_mul_i32 s53, s21, s54
	s_cselect_b32 s56, -1, 0
	s_mul_i32 s21, s21, s22
	s_mul_i32 s33, s52, s23
	s_ashr_i32 s31, s30, 31
	s_mul_i32 s6, s6, s25
	v_cmp_ne_u32_e64 s5, 0, v17
	v_cmp_lt_u32_e64 s14, 1, v17
	v_cmp_lt_u32_e64 s16, 7, v17
	s_waitcnt lgkmcnt(0)
	v_mul_f32_e32 v14, s15, v5
	v_mul_f32_e32 v13, s15, v6
	v_cndmask_b32_e32 v5, v19, v16, vcc_lo
	v_lshrrev_b32_e32 v6, 2, v0
	v_mul_f32_e32 v12, s15, v7
	v_and_b32_e32 v7, 3, v16
	v_mul_f32_e32 v11, s15, v8
	v_lshlrev_b32_e32 v15, 2, v5
	v_and_b32_e32 v5, 24, v6
	v_lshlrev_b32_e32 v6, 3, v0
	v_cmp_lt_u32_e64 s15, 3, v17
	v_cmp_ne_u32_e64 s17, 0, v18
	v_cmp_gt_u32_e64 s19, 4, v0
	v_add_nc_u32_e32 v16, 0, v5
	v_sub_nc_u32_e32 v5, 0, v6
	v_cmp_lt_u32_e64 s20, 31, v0
	s_add_i32 s33, s33, s21
	v_cmp_ne_u32_e64 s21, 0, v7
	v_cmp_lt_u32_e64 s22, 1, v7
	v_add_nc_u32_e32 v17, -8, v16
	v_cmp_eq_u32_e64 s23, v0, v3
	v_mov_b32_e32 v18, v4
	v_lshl_add_u32 v19, v0, 4, 0x1020
	s_lshl_b64 s[30:31], s[30:31], 2
	v_add_nc_u32_e32 v20, v9, v5
	s_ashr_i32 s52, s7, 31
	s_lshl_b32 s6, s6, 3
	s_add_u32 s30, s40, s30
	s_mov_b32 s54, 0
	s_addc_u32 s31, s41, s31
	s_mov_b32 s36, s33
	s_branch .LBB8_20
.LBB8_19:                               ;   in Loop: Header=BB8_20 Depth=1
	s_or_b32 exec_lo, exec_lo, s38
	v_fmac_f32_e32 v21, v4, v23
	v_fmac_f32_e32 v24, v4, v22
	;; [unrolled: 1-line block ×4, first 2 shown]
	v_add_nc_u32_e32 v19, 0x800, v19
	s_waitcnt lgkmcnt(1)
	v_fmac_f32_e32 v14, v7, v21
	v_fmac_f32_e32 v13, v8, v24
	s_waitcnt lgkmcnt(0)
	v_fmac_f32_e32 v12, v5, v26
	v_fmac_f32_e32 v11, v6, v27
	s_add_i32 s54, s54, 4
	s_add_i32 s53, s53, s55
	;; [unrolled: 1-line block ×4, first 2 shown]
	s_add_u32 s30, s30, 4
	s_addc_u32 s31, s31, 0
	s_cmp_eq_u32 s54, 32
	s_waitcnt_vscnt null, 0x0
	s_barrier
	buffer_gl0_inv
	s_cbranch_scc1 .LBB8_64
.LBB8_20:                               ; =>This Inner Loop Header: Depth=1
	s_and_saveexec_b32 s40, s8
	s_cbranch_execz .LBB8_25
; %bb.21:                               ;   in Loop: Header=BB8_20 Depth=1
	s_and_b32 vcc_lo, exec_lo, s56
	s_cbranch_vccz .LBB8_63
; %bb.22:                               ;   in Loop: Header=BB8_20 Depth=1
	s_ashr_i32 s37, s6, 31
	s_add_u32 s38, s7, s6
	s_addc_u32 s39, s52, s37
	s_lshl_b64 s[38:39], s[38:39], 2
	s_add_u32 s58, s48, s38
	s_addc_u32 s59, s49, s39
	s_add_u32 s37, s50, s38
	global_load_dword v3, v10, s[58:59] offset:-4
	s_addc_u32 s39, s51, s39
	s_add_u32 s38, s37, -4
	s_addc_u32 s39, s39, -1
	s_cbranch_execnz .LBB8_24
.LBB8_23:                               ;   in Loop: Header=BB8_20 Depth=1
	s_ashr_i32 s37, s36, 31
	s_waitcnt vmcnt(0)
	v_mov_b32_e32 v3, 1.0
	s_lshl_b64 s[38:39], s[36:37], 2
	s_add_u32 s38, s44, s38
	s_addc_u32 s39, s45, s39
.LBB8_24:                               ;   in Loop: Header=BB8_20 Depth=1
	global_load_dword v4, v10, s[38:39]
	s_add_i32 s37, s54, 0
	v_add_nc_u32_e64 v5, 0x9000, s37
	s_waitcnt vmcnt(0)
	ds_write2_b32 v5, v3, v4 offset0:8 offset1:16
.LBB8_25:                               ;   in Loop: Header=BB8_20 Depth=1
	s_or_b32 exec_lo, exec_lo, s40
	v_add_nc_u32_e32 v7, 0, v19
	s_and_saveexec_b32 s37, s10
	s_xor_b32 s37, exec_lo, s37
; %bb.26:                               ;   in Loop: Header=BB8_20 Depth=1
	ds_write_b32 v7, v10
; %bb.27:                               ;   in Loop: Header=BB8_20 Depth=1
	s_or_saveexec_b32 s37, s37
	v_mov_b32_e32 v3, 0
	v_mov_b32_e32 v4, 0
	s_xor_b32 exec_lo, exec_lo, s37
	s_cbranch_execz .LBB8_29
; %bb.28:                               ;   in Loop: Header=BB8_20 Depth=1
	v_add_nc_u32_e32 v4, s53, v1
	v_ashrrev_i32_e32 v5, 31, v4
	v_lshlrev_b64 v[4:5], 2, v[4:5]
	v_add_co_u32 v21, vcc_lo, s42, v4
	v_add_co_ci_u32_e64 v22, null, s43, v5, vcc_lo
	v_add_co_u32 v4, vcc_lo, s28, v4
	v_add_co_ci_u32_e64 v5, null, s29, v5, vcc_lo
	global_load_dword v6, v[21:22], off
	global_load_dword v4, v[4:5], off
	s_waitcnt vmcnt(1)
	ds_write_b32 v7, v6
.LBB8_29:                               ;   in Loop: Header=BB8_20 Depth=1
	s_or_b32 exec_lo, exec_lo, s37
	s_waitcnt vmcnt(0)
	ds_write_b32 v7, v4 offset:16384
	s_and_saveexec_b32 s37, s11
	s_cbranch_execz .LBB8_31
; %bb.30:                               ;   in Loop: Header=BB8_20 Depth=1
	s_ashr_i32 s38, s53, 31
	v_add_co_u32 v3, vcc_lo, s53, v1
	v_add_co_ci_u32_e64 v4, null, s38, v2, vcc_lo
	v_lshlrev_b64 v[3:4], 2, v[3:4]
	v_add_co_u32 v3, vcc_lo, s42, v3
	v_add_co_ci_u32_e64 v4, null, s43, v4, vcc_lo
	global_load_dword v3, v[3:4], off offset:4
.LBB8_31:                               ;   in Loop: Header=BB8_20 Depth=1
	s_or_b32 exec_lo, exec_lo, s37
	v_mov_b32_e32 v4, 0
	v_mov_b32_e32 v5, 0
	s_waitcnt vmcnt(0)
	ds_write_b32 v7, v3 offset:4
	s_and_saveexec_b32 s37, s11
	s_cbranch_execz .LBB8_33
; %bb.32:                               ;   in Loop: Header=BB8_20 Depth=1
	s_ashr_i32 s38, s53, 31
	v_add_co_u32 v5, vcc_lo, s53, v1
	v_add_co_ci_u32_e64 v6, null, s38, v2, vcc_lo
	v_lshlrev_b64 v[5:6], 2, v[5:6]
	v_add_co_u32 v5, vcc_lo, s28, v5
	v_add_co_ci_u32_e64 v6, null, s29, v6, vcc_lo
	global_load_dword v5, v[5:6], off offset:4
.LBB8_33:                               ;   in Loop: Header=BB8_20 Depth=1
	s_or_b32 exec_lo, exec_lo, s37
	s_waitcnt vmcnt(0)
	ds_write_b32 v7, v5 offset:16388
	s_and_saveexec_b32 s37, s12
	s_cbranch_execz .LBB8_35
; %bb.34:                               ;   in Loop: Header=BB8_20 Depth=1
	s_ashr_i32 s38, s53, 31
	v_add_co_u32 v3, vcc_lo, s53, v1
	v_add_co_ci_u32_e64 v4, null, s38, v2, vcc_lo
	v_lshlrev_b64 v[3:4], 2, v[3:4]
	v_add_co_u32 v3, vcc_lo, s42, v3
	v_add_co_ci_u32_e64 v4, null, s43, v4, vcc_lo
	global_load_dword v4, v[3:4], off offset:8
.LBB8_35:                               ;   in Loop: Header=BB8_20 Depth=1
	s_or_b32 exec_lo, exec_lo, s37
	v_mov_b32_e32 v3, 0
	v_mov_b32_e32 v5, 0
	s_waitcnt vmcnt(0)
	ds_write_b32 v7, v4 offset:8
	s_and_saveexec_b32 s37, s12
	s_cbranch_execz .LBB8_37
; %bb.36:                               ;   in Loop: Header=BB8_20 Depth=1
	s_ashr_i32 s38, s53, 31
	v_add_co_u32 v4, vcc_lo, s53, v1
	v_add_co_ci_u32_e64 v5, null, s38, v2, vcc_lo
	v_lshlrev_b64 v[4:5], 2, v[4:5]
	v_add_co_u32 v4, vcc_lo, s28, v4
	v_add_co_ci_u32_e64 v5, null, s29, v5, vcc_lo
	global_load_dword v5, v[4:5], off offset:8
.LBB8_37:                               ;   in Loop: Header=BB8_20 Depth=1
	s_or_b32 exec_lo, exec_lo, s37
	s_waitcnt vmcnt(0)
	ds_write_b32 v7, v5 offset:16392
	s_and_saveexec_b32 s37, s13
	s_cbranch_execz .LBB8_39
; %bb.38:                               ;   in Loop: Header=BB8_20 Depth=1
	s_ashr_i32 s38, s53, 31
	v_add_co_u32 v3, vcc_lo, s53, v1
	v_add_co_ci_u32_e64 v4, null, s38, v2, vcc_lo
	v_lshlrev_b64 v[3:4], 2, v[3:4]
	v_add_co_u32 v3, vcc_lo, s42, v3
	v_add_co_ci_u32_e64 v4, null, s43, v4, vcc_lo
	global_load_dword v3, v[3:4], off offset:12
.LBB8_39:                               ;   in Loop: Header=BB8_20 Depth=1
	s_or_b32 exec_lo, exec_lo, s37
	v_mov_b32_e32 v4, 0
	s_waitcnt vmcnt(0)
	ds_write_b32 v7, v3 offset:12
	s_and_saveexec_b32 s37, s13
	s_cbranch_execz .LBB8_41
; %bb.40:                               ;   in Loop: Header=BB8_20 Depth=1
	s_ashr_i32 s38, s53, 31
	v_add_co_u32 v3, vcc_lo, s53, v1
	v_add_co_ci_u32_e64 v4, null, s38, v2, vcc_lo
	v_lshlrev_b64 v[3:4], 2, v[3:4]
	v_add_co_u32 v3, vcc_lo, s28, v3
	v_add_co_ci_u32_e64 v4, null, s29, v4, vcc_lo
	global_load_dword v4, v[3:4], off offset:12
.LBB8_41:                               ;   in Loop: Header=BB8_20 Depth=1
	s_or_b32 exec_lo, exec_lo, s37
	s_waitcnt vmcnt(0)
	ds_write_b32 v7, v4 offset:16396
	s_waitcnt lgkmcnt(0)
	s_barrier
	buffer_gl0_inv
	global_load_dword v8, v10, s[30:31]
	v_add_nc_u32_e32 v3, 0x820, v9
	v_add_nc_u32_e32 v21, 0x828, v9
	ds_read2_b32 v[3:4], v3 offset1:1
	ds_read2_b32 v[5:6], v7 offset0:2 offset1:3
	ds_read2_b32 v[21:22], v21 offset1:1
	ds_read2_b32 v[23:24], v7 offset1:1
	ds_read2_b32 v[25:26], v9 offset0:8 offset1:9
	ds_read2_b32 v[27:28], v9 offset0:10 offset1:11
	s_add_i32 s37, s54, 0
	v_add_nc_u32_e64 v32, 0x9000, s37
	s_waitcnt lgkmcnt(3)
	v_mul_f32_e32 v5, v21, v5
	v_mul_f32_e32 v6, v22, v6
	s_waitcnt vmcnt(0)
	v_mul_f32_e32 v29, v3, v8
	v_mul_f32_e32 v30, v4, v8
	;; [unrolled: 1-line block ×3, first 2 shown]
	s_waitcnt lgkmcnt(2)
	v_mul_f32_e32 v3, v3, v23
	v_mul_f32_e32 v8, v22, v8
	;; [unrolled: 1-line block ×6, first 2 shown]
	s_waitcnt lgkmcnt(1)
	v_mul_f32_e32 v21, v25, v3
	v_exp_f32_e32 v23, v29
	v_exp_f32_e32 v31, v30
	v_mul_f32_e32 v3, 0x3fb8aa3b, v8
	v_exp_f32_e32 v33, v33
	v_mul_f32_e32 v8, v26, v4
	s_waitcnt lgkmcnt(0)
	v_mul_f32_e32 v29, v27, v5
	v_exp_f32_e32 v30, v3
	ds_read2_b32 v[3:4], v32 offset0:8 offset1:16
	v_mul_f32_e32 v32, v28, v6
	v_mul_f32_e32 v22, v23, v31
	v_fma_f32 v24, v21, v31, v8
	v_mul_f32_e32 v25, v22, v33
	v_fma_f32 v26, v24, v33, v29
	;; [unrolled: 2-line block ×3, first 2 shown]
	v_mov_b32_dpp v5, v28 row_shr:1 row_mask:0xf bank_mask:0xf
	v_mov_b32_dpp v6, v27 row_shr:1 row_mask:0xf bank_mask:0xf
	v_mov_b32_e32 v34, v27
	v_mov_b32_e32 v35, v28
	s_and_saveexec_b32 s38, s5
; %bb.42:                               ;   in Loop: Header=BB8_20 Depth=1
	v_mov_b32_e32 v34, v27
	v_mul_f32_e32 v35, v28, v5
	v_fmac_f32_e32 v34, v28, v6
; %bb.43:                               ;   in Loop: Header=BB8_20 Depth=1
	s_or_b32 exec_lo, exec_lo, s38
	v_mov_b32_dpp v6, v35 row_shr:2 row_mask:0xf bank_mask:0xf
	v_mov_b32_dpp v5, v34 row_shr:2 row_mask:0xf bank_mask:0xf
	s_and_saveexec_b32 s38, s14
; %bb.44:                               ;   in Loop: Header=BB8_20 Depth=1
	v_mul_f32_e32 v6, v35, v6
	v_fmac_f32_e32 v34, v35, v5
	v_mov_b32_e32 v35, v6
; %bb.45:                               ;   in Loop: Header=BB8_20 Depth=1
	s_or_b32 exec_lo, exec_lo, s38
	v_mov_b32_dpp v6, v35 row_shr:4 row_mask:0xf bank_mask:0xf
	v_mov_b32_dpp v5, v34 row_shr:4 row_mask:0xf bank_mask:0xf
	s_and_saveexec_b32 s38, s15
; %bb.46:                               ;   in Loop: Header=BB8_20 Depth=1
	v_mul_f32_e32 v6, v35, v6
	v_fmac_f32_e32 v34, v35, v5
	v_mov_b32_e32 v35, v6
	;; [unrolled: 9-line block ×3, first 2 shown]
; %bb.49:                               ;   in Loop: Header=BB8_20 Depth=1
	s_or_b32 exec_lo, exec_lo, s38
	ds_swizzle_b32 v5, v35 offset:swizzle(BROADCAST,32,15)
	ds_swizzle_b32 v6, v34 offset:swizzle(BROADCAST,32,15)
	s_and_saveexec_b32 s38, s17
	s_cbranch_execz .LBB8_51
; %bb.50:                               ;   in Loop: Header=BB8_20 Depth=1
	s_waitcnt lgkmcnt(0)
	v_fmac_f32_e32 v34, v35, v6
	v_mul_f32_e32 v35, v35, v5
.LBB8_51:                               ;   in Loop: Header=BB8_20 Depth=1
	s_or_b32 exec_lo, exec_lo, s38
	s_and_saveexec_b32 s38, s18
; %bb.52:                               ;   in Loop: Header=BB8_20 Depth=1
	ds_write2_b32 v16, v35, v34 offset1:1
; %bb.53:                               ;   in Loop: Header=BB8_20 Depth=1
	s_or_b32 exec_lo, exec_lo, s38
	s_waitcnt lgkmcnt(0)
	s_barrier
	buffer_gl0_inv
	s_and_saveexec_b32 s38, s19
	s_cbranch_execz .LBB8_57
; %bb.54:                               ;   in Loop: Header=BB8_20 Depth=1
	ds_read2_b32 v[5:6], v20 offset1:1
	s_waitcnt lgkmcnt(0)
	v_mov_b32_dpp v36, v5 row_shr:1 row_mask:0xf bank_mask:0xf
	v_mov_b32_dpp v37, v6 row_shr:1 row_mask:0xf bank_mask:0xf
	s_and_saveexec_b32 s39, s21
; %bb.55:                               ;   in Loop: Header=BB8_20 Depth=1
	v_fma_f32 v6, v5, v37, v6
	v_mul_f32_e32 v5, v5, v36
; %bb.56:                               ;   in Loop: Header=BB8_20 Depth=1
	s_or_b32 exec_lo, exec_lo, s39
	v_mov_b32_dpp v36, v5 row_shr:2 row_mask:0xf bank_mask:0xf
	v_mov_b32_dpp v37, v6 row_shr:2 row_mask:0xf bank_mask:0xf
	v_mul_f32_e32 v36, v5, v36
	v_fma_f32 v37, v5, v37, v6
	v_cndmask_b32_e64 v5, v5, v36, s22
	v_cndmask_b32_e64 v6, v6, v37, s22
	ds_write2_b32 v20, v5, v6 offset1:1
.LBB8_57:                               ;   in Loop: Header=BB8_20 Depth=1
	s_or_b32 exec_lo, exec_lo, s38
	s_waitcnt lgkmcnt(0)
	s_barrier
	buffer_gl0_inv
                                        ; implicit-def: $vgpr6
	s_and_saveexec_b32 s38, s20
	s_cbranch_execz .LBB8_59
; %bb.58:                               ;   in Loop: Header=BB8_20 Depth=1
	ds_read2_b32 v[5:6], v17 offset1:1
	s_waitcnt lgkmcnt(0)
	v_mul_f32_e32 v36, v35, v5
	v_fmac_f32_e32 v34, v35, v6
	v_mov_b32_e32 v35, v36
.LBB8_59:                               ;   in Loop: Header=BB8_20 Depth=1
	s_or_b32 exec_lo, exec_lo, s38
	ds_bpermute_b32 v35, v15, v35
	ds_bpermute_b32 v34, v15, v34
	s_and_saveexec_b32 s38, s24
	s_cbranch_execz .LBB8_61
; %bb.60:                               ;   in Loop: Header=BB8_20 Depth=1
	s_waitcnt lgkmcnt(0)
	v_cndmask_b32_e64 v6, v34, v6, s4
	v_cndmask_b32_e64 v5, v35, v5, s4
	;;#ASMSTART
	;;#ASMEND
	v_fmac_f32_e32 v21, v23, v6
	v_mul_f32_e32 v23, v23, v5
	v_fmac_f32_e32 v8, v21, v31
	v_mul_f32_e32 v22, v23, v31
	;; [unrolled: 2-line block ×3, first 2 shown]
	v_mov_b32_e32 v24, v8
	v_fmac_f32_e32 v32, v29, v30
	v_mul_f32_e32 v28, v25, v30
	v_mov_b32_e32 v26, v29
	v_mov_b32_e32 v27, v32
.LBB8_61:                               ;   in Loop: Header=BB8_20 Depth=1
	s_or_b32 exec_lo, exec_lo, s38
	v_add_nc_u32_e32 v5, 0x4000, v7
	v_add_nc_u32_e32 v6, 0x4008, v7
	buffer_store_dword v23, off, s[0:3], 0
	buffer_store_dword v21, off, s[0:3], 0 offset:4
	buffer_store_dword v22, off, s[0:3], 0 offset:8
	;; [unrolled: 1-line block ×7, first 2 shown]
	s_waitcnt lgkmcnt(0)
	s_waitcnt_vscnt null, 0x0
	s_barrier
	buffer_gl0_inv
	ds_read2_b32 v[7:8], v5 offset1:1
	ds_read2_b32 v[5:6], v6 offset1:1
	s_and_saveexec_b32 s38, s23
	s_cbranch_execz .LBB8_19
; %bb.62:                               ;   in Loop: Header=BB8_20 Depth=1
	s_clause 0x1
	buffer_load_dword v29, v18, s[0:3], 0 offen
	buffer_load_dword v30, v18, s[0:3], 0 offen offset:4
	s_add_i32 s40, s7, s6
	v_add_nc_u32_e64 v31, 0x9000, s37
	s_ashr_i32 s41, s40, 31
	s_lshl_b64 s[40:41], s[40:41], 2
	s_add_u32 s58, s48, s40
	s_addc_u32 s59, s49, s41
	s_add_u32 s40, s50, s40
	s_addc_u32 s41, s51, s41
	s_waitcnt vmcnt(1)
	v_mul_f32_e32 v3, v3, v29
	s_waitcnt vmcnt(0)
	v_fmac_f32_e32 v30, v4, v29
	global_store_dword v10, v3, s[58:59]
	global_store_dword v10, v30, s[40:41]
	ds_write2_b32 v31, v3, v30 offset0:8 offset1:16
	s_branch .LBB8_19
.LBB8_63:                               ;   in Loop: Header=BB8_20 Depth=1
                                        ; implicit-def: $sgpr38_sgpr39
                                        ; implicit-def: $vgpr3
	s_branch .LBB8_23
.LBB8_64:
	v_lshlrev_b64 v[1:2], 2, v[1:2]
	s_add_u32 s4, s46, s26
	s_addc_u32 s5, s47, s27
	s_add_u32 s4, s4, s34
	s_addc_u32 s5, s5, s35
	s_and_saveexec_b32 s6, s9
	s_cbranch_execnz .LBB8_72
; %bb.65:
	s_or_b32 exec_lo, exec_lo, s6
	s_and_saveexec_b32 s6, s11
	s_cbranch_execnz .LBB8_73
.LBB8_66:
	s_or_b32 exec_lo, exec_lo, s6
	s_and_saveexec_b32 s6, s12
	s_cbranch_execnz .LBB8_74
.LBB8_67:
	s_or_b32 exec_lo, exec_lo, s6
	s_and_saveexec_b32 s6, s13
	s_cbranch_execz .LBB8_69
.LBB8_68:
	v_add_co_u32 v1, vcc_lo, s4, v1
	v_add_co_ci_u32_e64 v2, null, s5, v2, vcc_lo
	global_store_dword v[1:2], v11, off offset:12
.LBB8_69:
	s_or_b32 exec_lo, exec_lo, s6
	s_add_i32 s25, s25, -1
	v_cmp_gt_u32_e32 vcc_lo, 8, v0
	s_cmp_eq_u32 s7, s25
	s_cselect_b32 s4, -1, 0
	s_and_b32 s4, s4, vcc_lo
	s_and_saveexec_b32 s5, s4
	s_cbranch_execz .LBB8_71
; %bb.70:
	v_lshl_add_u32 v1, v0, 2, 0
	v_add_nc_u32_e32 v0, s33, v0
	ds_read_b32 v2, v1 offset:36928
	v_ashrrev_i32_e32 v1, 31, v0
	v_lshlrev_b64 v[0:1], 2, v[0:1]
	v_add_co_u32 v0, vcc_lo, s44, v0
	v_add_co_ci_u32_e64 v1, null, s45, v1, vcc_lo
	s_waitcnt lgkmcnt(0)
	global_store_dword v[0:1], v2, off
.LBB8_71:
	s_endpgm
.LBB8_72:
	v_add_co_u32 v3, vcc_lo, s4, v1
	v_add_co_ci_u32_e64 v4, null, s5, v2, vcc_lo
	global_store_dword v[3:4], v14, off
	s_or_b32 exec_lo, exec_lo, s6
	s_and_saveexec_b32 s6, s11
	s_cbranch_execz .LBB8_66
.LBB8_73:
	v_add_co_u32 v3, vcc_lo, s4, v1
	v_add_co_ci_u32_e64 v4, null, s5, v2, vcc_lo
	global_store_dword v[3:4], v13, off offset:4
	s_or_b32 exec_lo, exec_lo, s6
	s_and_saveexec_b32 s6, s12
	s_cbranch_execz .LBB8_67
.LBB8_74:
	v_add_co_u32 v3, vcc_lo, s4, v1
	v_add_co_ci_u32_e64 v4, null, s5, v2, vcc_lo
	global_store_dword v[3:4], v12, off offset:8
	s_or_b32 exec_lo, exec_lo, s6
	s_and_saveexec_b32 s6, s13
	s_cbranch_execnz .LBB8_68
	s_branch .LBB8_69
	.section	.rodata,"a",@progbits
	.p2align	6, 0x0
	.amdhsa_kernel _Z26selective_scan_vllm_kernelI18SSMFwdKernelTraitsILi128ELi4ELi8ELb0ELb0ELb0EEEv13SSMParamsBase
		.amdhsa_group_segment_fixed_size 0
		.amdhsa_private_segment_fixed_size 48
		.amdhsa_kernarg_size 144
		.amdhsa_user_sgpr_count 6
		.amdhsa_user_sgpr_private_segment_buffer 1
		.amdhsa_user_sgpr_dispatch_ptr 0
		.amdhsa_user_sgpr_queue_ptr 0
		.amdhsa_user_sgpr_kernarg_segment_ptr 1
		.amdhsa_user_sgpr_dispatch_id 0
		.amdhsa_user_sgpr_flat_scratch_init 0
		.amdhsa_user_sgpr_private_segment_size 0
		.amdhsa_wavefront_size32 1
		.amdhsa_uses_dynamic_stack 0
		.amdhsa_system_sgpr_private_segment_wavefront_offset 1
		.amdhsa_system_sgpr_workgroup_id_x 1
		.amdhsa_system_sgpr_workgroup_id_y 1
		.amdhsa_system_sgpr_workgroup_id_z 0
		.amdhsa_system_sgpr_workgroup_info 0
		.amdhsa_system_vgpr_workitem_id 0
		.amdhsa_next_free_vgpr 38
		.amdhsa_next_free_sgpr 60
		.amdhsa_reserve_vcc 1
		.amdhsa_reserve_flat_scratch 0
		.amdhsa_float_round_mode_32 0
		.amdhsa_float_round_mode_16_64 0
		.amdhsa_float_denorm_mode_32 3
		.amdhsa_float_denorm_mode_16_64 3
		.amdhsa_dx10_clamp 1
		.amdhsa_ieee_mode 1
		.amdhsa_fp16_overflow 0
		.amdhsa_workgroup_processor_mode 1
		.amdhsa_memory_ordered 1
		.amdhsa_forward_progress 1
		.amdhsa_shared_vgpr_count 0
		.amdhsa_exception_fp_ieee_invalid_op 0
		.amdhsa_exception_fp_denorm_src 0
		.amdhsa_exception_fp_ieee_div_zero 0
		.amdhsa_exception_fp_ieee_overflow 0
		.amdhsa_exception_fp_ieee_underflow 0
		.amdhsa_exception_fp_ieee_inexact 0
		.amdhsa_exception_int_div_zero 0
	.end_amdhsa_kernel
	.section	.text._Z26selective_scan_vllm_kernelI18SSMFwdKernelTraitsILi128ELi4ELi8ELb0ELb0ELb0EEEv13SSMParamsBase,"axG",@progbits,_Z26selective_scan_vllm_kernelI18SSMFwdKernelTraitsILi128ELi4ELi8ELb0ELb0ELb0EEEv13SSMParamsBase,comdat
.Lfunc_end8:
	.size	_Z26selective_scan_vllm_kernelI18SSMFwdKernelTraitsILi128ELi4ELi8ELb0ELb0ELb0EEEv13SSMParamsBase, .Lfunc_end8-_Z26selective_scan_vllm_kernelI18SSMFwdKernelTraitsILi128ELi4ELi8ELb0ELb0ELb0EEEv13SSMParamsBase
                                        ; -- End function
	.set _Z26selective_scan_vllm_kernelI18SSMFwdKernelTraitsILi128ELi4ELi8ELb0ELb0ELb0EEEv13SSMParamsBase.num_vgpr, 38
	.set _Z26selective_scan_vllm_kernelI18SSMFwdKernelTraitsILi128ELi4ELi8ELb0ELb0ELb0EEEv13SSMParamsBase.num_agpr, 0
	.set _Z26selective_scan_vllm_kernelI18SSMFwdKernelTraitsILi128ELi4ELi8ELb0ELb0ELb0EEEv13SSMParamsBase.numbered_sgpr, 60
	.set _Z26selective_scan_vllm_kernelI18SSMFwdKernelTraitsILi128ELi4ELi8ELb0ELb0ELb0EEEv13SSMParamsBase.num_named_barrier, 0
	.set _Z26selective_scan_vllm_kernelI18SSMFwdKernelTraitsILi128ELi4ELi8ELb0ELb0ELb0EEEv13SSMParamsBase.private_seg_size, 48
	.set _Z26selective_scan_vllm_kernelI18SSMFwdKernelTraitsILi128ELi4ELi8ELb0ELb0ELb0EEEv13SSMParamsBase.uses_vcc, 1
	.set _Z26selective_scan_vllm_kernelI18SSMFwdKernelTraitsILi128ELi4ELi8ELb0ELb0ELb0EEEv13SSMParamsBase.uses_flat_scratch, 0
	.set _Z26selective_scan_vllm_kernelI18SSMFwdKernelTraitsILi128ELi4ELi8ELb0ELb0ELb0EEEv13SSMParamsBase.has_dyn_sized_stack, 0
	.set _Z26selective_scan_vllm_kernelI18SSMFwdKernelTraitsILi128ELi4ELi8ELb0ELb0ELb0EEEv13SSMParamsBase.has_recursion, 0
	.set _Z26selective_scan_vllm_kernelI18SSMFwdKernelTraitsILi128ELi4ELi8ELb0ELb0ELb0EEEv13SSMParamsBase.has_indirect_call, 0
	.section	.AMDGPU.csdata,"",@progbits
; Kernel info:
; codeLenInByte = 3392
; TotalNumSgprs: 62
; NumVgprs: 38
; ScratchSize: 48
; MemoryBound: 0
; FloatMode: 240
; IeeeMode: 1
; LDSByteSize: 0 bytes/workgroup (compile time only)
; SGPRBlocks: 0
; VGPRBlocks: 4
; NumSGPRsForWavesPerEU: 62
; NumVGPRsForWavesPerEU: 38
; Occupancy: 16
; WaveLimiterHint : 0
; COMPUTE_PGM_RSRC2:SCRATCH_EN: 1
; COMPUTE_PGM_RSRC2:USER_SGPR: 6
; COMPUTE_PGM_RSRC2:TRAP_HANDLER: 0
; COMPUTE_PGM_RSRC2:TGID_X_EN: 1
; COMPUTE_PGM_RSRC2:TGID_Y_EN: 1
; COMPUTE_PGM_RSRC2:TGID_Z_EN: 0
; COMPUTE_PGM_RSRC2:TIDIG_COMP_CNT: 0
	.text
	.p2alignl 6, 3214868480
	.fill 48, 4, 3214868480
	.section	.AMDGPU.gpr_maximums,"",@progbits
	.set amdgpu.max_num_vgpr, 0
	.set amdgpu.max_num_agpr, 0
	.set amdgpu.max_num_sgpr, 0
	.text
	.type	__hip_cuid_e0f6f14d8d08c63d,@object ; @__hip_cuid_e0f6f14d8d08c63d
	.section	.bss,"aw",@nobits
	.globl	__hip_cuid_e0f6f14d8d08c63d
__hip_cuid_e0f6f14d8d08c63d:
	.byte	0                               ; 0x0
	.size	__hip_cuid_e0f6f14d8d08c63d, 1

	.ident	"AMD clang version 22.0.0git (https://github.com/RadeonOpenCompute/llvm-project roc-7.2.4 26084 f58b06dce1f9c15707c5f808fd002e18c2accf7e)"
	.section	".note.GNU-stack","",@progbits
	.addrsig
	.addrsig_sym __hip_cuid_e0f6f14d8d08c63d
	.amdgpu_metadata
---
amdhsa.kernels:
  - .args:
      - .actual_access:  read_only
        .address_space:  global
        .offset:         0
        .size:           8
        .value_kind:     global_buffer
      - .actual_access:  read_only
        .address_space:  global
        .offset:         8
        .size:           8
        .value_kind:     global_buffer
      - .actual_access:  read_only
        .address_space:  global
        .offset:         16
        .size:           8
        .value_kind:     global_buffer
      - .actual_access:  read_only
        .address_space:  global
        .offset:         24
        .size:           8
        .value_kind:     global_buffer
      - .actual_access:  read_only
        .address_space:  global
        .offset:         32
        .size:           8
        .value_kind:     global_buffer
      - .actual_access:  read_only
        .address_space:  global
        .offset:         40
        .size:           8
        .value_kind:     global_buffer
      - .actual_access:  read_only
        .address_space:  global
        .offset:         48
        .size:           8
        .value_kind:     global_buffer
      - .actual_access:  read_only
        .address_space:  global
        .offset:         56
        .size:           8
        .value_kind:     global_buffer
      - .offset:         64
        .size:           1
        .value_kind:     by_value
      - .offset:         68
        .size:           4
        .value_kind:     by_value
      - .offset:         72
        .size:           4
        .value_kind:     by_value
      - .offset:         76
        .size:           4
        .value_kind:     by_value
      - .offset:         80
        .size:           4
        .value_kind:     by_value
      - .address_space:  global
        .offset:         88
        .size:           8
        .value_kind:     global_buffer
      - .actual_access:  write_only
        .address_space:  global
        .offset:         96
        .size:           8
        .value_kind:     global_buffer
      - .offset:         104
        .size:           4
        .value_kind:     hidden_block_count_x
      - .offset:         108
        .size:           4
        .value_kind:     hidden_block_count_y
      - .offset:         112
        .size:           4
        .value_kind:     hidden_block_count_z
      - .offset:         116
        .size:           2
        .value_kind:     hidden_group_size_x
      - .offset:         118
        .size:           2
        .value_kind:     hidden_group_size_y
      - .offset:         120
        .size:           2
        .value_kind:     hidden_group_size_z
      - .offset:         122
        .size:           2
        .value_kind:     hidden_remainder_x
      - .offset:         124
        .size:           2
        .value_kind:     hidden_remainder_y
      - .offset:         126
        .size:           2
        .value_kind:     hidden_remainder_z
      - .offset:         144
        .size:           8
        .value_kind:     hidden_global_offset_x
      - .offset:         152
        .size:           8
        .value_kind:     hidden_global_offset_y
      - .offset:         160
        .size:           8
        .value_kind:     hidden_global_offset_z
      - .offset:         168
        .size:           2
        .value_kind:     hidden_grid_dims
    .group_segment_fixed_size: 0
    .kernarg_segment_align: 8
    .kernarg_segment_size: 360
    .language:       OpenCL C
    .language_version:
      - 2
      - 0
    .max_flat_workgroup_size: 1024
    .name:           _Z19selective_scan_basePKfS0_S0_S0_S0_S0_S0_S0_biiiiPfS1_
    .private_segment_fixed_size: 0
    .sgpr_count:     34
    .sgpr_spill_count: 0
    .symbol:         _Z19selective_scan_basePKfS0_S0_S0_S0_S0_S0_S0_biiiiPfS1_.kd
    .uniform_work_group_size: 1
    .uses_dynamic_stack: false
    .vgpr_count:     24
    .vgpr_spill_count: 0
    .wavefront_size: 32
    .workgroup_processor_mode: 1
  - .args:
      - .offset:         0
        .size:           144
        .value_kind:     by_value
    .group_segment_fixed_size: 0
    .kernarg_segment_align: 8
    .kernarg_segment_size: 144
    .language:       OpenCL C
    .language_version:
      - 2
      - 0
    .max_flat_workgroup_size: 128
    .name:           _Z26selective_scan_vllm_kernelI18SSMFwdKernelTraitsILi128ELi4ELi8ELb1ELb1ELb1EEEv13SSMParamsBase
    .private_segment_fixed_size: 48
    .sgpr_count:     61
    .sgpr_spill_count: 0
    .symbol:         _Z26selective_scan_vllm_kernelI18SSMFwdKernelTraitsILi128ELi4ELi8ELb1ELb1ELb1EEEv13SSMParamsBase.kd
    .uniform_work_group_size: 1
    .uses_dynamic_stack: false
    .vgpr_count:     42
    .vgpr_spill_count: 0
    .wavefront_size: 32
    .workgroup_processor_mode: 1
  - .args:
      - .offset:         0
        .size:           144
        .value_kind:     by_value
    .group_segment_fixed_size: 0
    .kernarg_segment_align: 8
    .kernarg_segment_size: 144
    .language:       OpenCL C
    .language_version:
      - 2
      - 0
    .max_flat_workgroup_size: 128
    .name:           _Z26selective_scan_vllm_kernelI18SSMFwdKernelTraitsILi128ELi4ELi8ELb1ELb1ELb0EEEv13SSMParamsBase
    .private_segment_fixed_size: 48
    .sgpr_count:     64
    .sgpr_spill_count: 0
    .symbol:         _Z26selective_scan_vllm_kernelI18SSMFwdKernelTraitsILi128ELi4ELi8ELb1ELb1ELb0EEEv13SSMParamsBase.kd
    .uniform_work_group_size: 1
    .uses_dynamic_stack: false
    .vgpr_count:     38
    .vgpr_spill_count: 0
    .wavefront_size: 32
    .workgroup_processor_mode: 1
  - .args:
      - .offset:         0
        .size:           144
        .value_kind:     by_value
    .group_segment_fixed_size: 0
    .kernarg_segment_align: 8
    .kernarg_segment_size: 144
    .language:       OpenCL C
    .language_version:
      - 2
      - 0
    .max_flat_workgroup_size: 128
    .name:           _Z26selective_scan_vllm_kernelI18SSMFwdKernelTraitsILi128ELi4ELi8ELb1ELb0ELb1EEEv13SSMParamsBase
    .private_segment_fixed_size: 48
    .sgpr_count:     60
    .sgpr_spill_count: 0
    .symbol:         _Z26selective_scan_vllm_kernelI18SSMFwdKernelTraitsILi128ELi4ELi8ELb1ELb0ELb1EEEv13SSMParamsBase.kd
    .uniform_work_group_size: 1
    .uses_dynamic_stack: false
    .vgpr_count:     42
    .vgpr_spill_count: 0
    .wavefront_size: 32
    .workgroup_processor_mode: 1
  - .args:
      - .offset:         0
        .size:           144
        .value_kind:     by_value
    .group_segment_fixed_size: 0
    .kernarg_segment_align: 8
    .kernarg_segment_size: 144
    .language:       OpenCL C
    .language_version:
      - 2
      - 0
    .max_flat_workgroup_size: 128
    .name:           _Z26selective_scan_vllm_kernelI18SSMFwdKernelTraitsILi128ELi4ELi8ELb1ELb0ELb0EEEv13SSMParamsBase
    .private_segment_fixed_size: 48
    .sgpr_count:     64
    .sgpr_spill_count: 0
    .symbol:         _Z26selective_scan_vllm_kernelI18SSMFwdKernelTraitsILi128ELi4ELi8ELb1ELb0ELb0EEEv13SSMParamsBase.kd
    .uniform_work_group_size: 1
    .uses_dynamic_stack: false
    .vgpr_count:     38
    .vgpr_spill_count: 0
    .wavefront_size: 32
    .workgroup_processor_mode: 1
  - .args:
      - .offset:         0
        .size:           144
        .value_kind:     by_value
    .group_segment_fixed_size: 0
    .kernarg_segment_align: 8
    .kernarg_segment_size: 144
    .language:       OpenCL C
    .language_version:
      - 2
      - 0
    .max_flat_workgroup_size: 128
    .name:           _Z26selective_scan_vllm_kernelI18SSMFwdKernelTraitsILi128ELi4ELi8ELb0ELb1ELb1EEEv13SSMParamsBase
    .private_segment_fixed_size: 48
    .sgpr_count:     57
    .sgpr_spill_count: 0
    .symbol:         _Z26selective_scan_vllm_kernelI18SSMFwdKernelTraitsILi128ELi4ELi8ELb0ELb1ELb1EEEv13SSMParamsBase.kd
    .uniform_work_group_size: 1
    .uses_dynamic_stack: false
    .vgpr_count:     42
    .vgpr_spill_count: 0
    .wavefront_size: 32
    .workgroup_processor_mode: 1
  - .args:
      - .offset:         0
        .size:           144
        .value_kind:     by_value
    .group_segment_fixed_size: 0
    .kernarg_segment_align: 8
    .kernarg_segment_size: 144
    .language:       OpenCL C
    .language_version:
      - 2
      - 0
    .max_flat_workgroup_size: 128
    .name:           _Z26selective_scan_vllm_kernelI18SSMFwdKernelTraitsILi128ELi4ELi8ELb0ELb1ELb0EEEv13SSMParamsBase
    .private_segment_fixed_size: 48
    .sgpr_count:     62
    .sgpr_spill_count: 0
    .symbol:         _Z26selective_scan_vllm_kernelI18SSMFwdKernelTraitsILi128ELi4ELi8ELb0ELb1ELb0EEEv13SSMParamsBase.kd
    .uniform_work_group_size: 1
    .uses_dynamic_stack: false
    .vgpr_count:     38
    .vgpr_spill_count: 0
    .wavefront_size: 32
    .workgroup_processor_mode: 1
  - .args:
      - .offset:         0
        .size:           144
        .value_kind:     by_value
    .group_segment_fixed_size: 0
    .kernarg_segment_align: 8
    .kernarg_segment_size: 144
    .language:       OpenCL C
    .language_version:
      - 2
      - 0
    .max_flat_workgroup_size: 128
    .name:           _Z26selective_scan_vllm_kernelI18SSMFwdKernelTraitsILi128ELi4ELi8ELb0ELb0ELb1EEEv13SSMParamsBase
    .private_segment_fixed_size: 48
    .sgpr_count:     56
    .sgpr_spill_count: 0
    .symbol:         _Z26selective_scan_vllm_kernelI18SSMFwdKernelTraitsILi128ELi4ELi8ELb0ELb0ELb1EEEv13SSMParamsBase.kd
    .uniform_work_group_size: 1
    .uses_dynamic_stack: false
    .vgpr_count:     42
    .vgpr_spill_count: 0
    .wavefront_size: 32
    .workgroup_processor_mode: 1
  - .args:
      - .offset:         0
        .size:           144
        .value_kind:     by_value
    .group_segment_fixed_size: 0
    .kernarg_segment_align: 8
    .kernarg_segment_size: 144
    .language:       OpenCL C
    .language_version:
      - 2
      - 0
    .max_flat_workgroup_size: 128
    .name:           _Z26selective_scan_vllm_kernelI18SSMFwdKernelTraitsILi128ELi4ELi8ELb0ELb0ELb0EEEv13SSMParamsBase
    .private_segment_fixed_size: 48
    .sgpr_count:     62
    .sgpr_spill_count: 0
    .symbol:         _Z26selective_scan_vllm_kernelI18SSMFwdKernelTraitsILi128ELi4ELi8ELb0ELb0ELb0EEEv13SSMParamsBase.kd
    .uniform_work_group_size: 1
    .uses_dynamic_stack: false
    .vgpr_count:     38
    .vgpr_spill_count: 0
    .wavefront_size: 32
    .workgroup_processor_mode: 1
amdhsa.target:   amdgcn-amd-amdhsa--gfx1030
amdhsa.version:
  - 1
  - 2
...

	.end_amdgpu_metadata
